;; amdgpu-corpus repo=ROCm/rocFFT kind=compiled arch=gfx1030 opt=O3
	.text
	.amdgcn_target "amdgcn-amd-amdhsa--gfx1030"
	.amdhsa_code_object_version 6
	.protected	bluestein_single_back_len605_dim1_dp_op_CI_CI ; -- Begin function bluestein_single_back_len605_dim1_dp_op_CI_CI
	.globl	bluestein_single_back_len605_dim1_dp_op_CI_CI
	.p2align	8
	.type	bluestein_single_back_len605_dim1_dp_op_CI_CI,@function
bluestein_single_back_len605_dim1_dp_op_CI_CI: ; @bluestein_single_back_len605_dim1_dp_op_CI_CI
; %bb.0:
	s_load_dwordx4 s[16:19], s[4:5], 0x28
	v_mul_u32_u24_e32 v1, 0x4a8, v0
	v_mov_b32_e32 v193, 0
	s_mov_b32 s0, exec_lo
	v_lshrrev_b32_e32 v1, 16, v1
	v_add_nc_u32_e32 v192, s6, v1
	s_waitcnt lgkmcnt(0)
	v_cmpx_gt_u64_e64 s[16:17], v[192:193]
	s_cbranch_execz .LBB0_10
; %bb.1:
	s_clause 0x1
	s_load_dwordx4 s[8:11], s[4:5], 0x18
	s_load_dwordx4 s[12:15], s[4:5], 0x0
	v_mul_lo_u16 v1, v1, 55
	s_mov_b32 s24, 0xf8bb580b
	s_mov_b32 s16, 0x43842ef
	;; [unrolled: 1-line block ×4, first 2 shown]
	v_sub_nc_u16 v66, v0, v1
	s_mov_b32 s17, 0xbfefac9e
	s_mov_b32 s6, 0xd9c712b6
	;; [unrolled: 1-line block ×4, first 2 shown]
	v_and_b32_e32 v210, 0xffff, v66
	s_mov_b32 s27, 0xbfeeb42a
	s_mov_b32 s35, 0x3fd207e7
	;; [unrolled: 1-line block ×4, first 2 shown]
	v_lshlrev_b32_e32 v209, 4, v210
	s_mov_b32 s30, s16
	s_mov_b32 s28, s24
	s_waitcnt lgkmcnt(0)
	s_load_dwordx4 s[20:23], s[8:9], 0x0
	s_clause 0x2
	global_load_dwordx4 v[8:11], v209, s[12:13]
	global_load_dwordx4 v[4:7], v209, s[12:13] offset:880
	global_load_dwordx4 v[0:3], v209, s[12:13] offset:1760
	v_add_co_u32 v188, s0, s12, v209
	v_add_co_ci_u32_e64 v189, null, s13, 0, s0
	s_mov_b32 s12, 0x640f44db
	v_add_co_u32 v14, vcc_lo, 0x1000, v188
	v_add_co_u32 v36, s1, 0x1800, v188
	v_add_co_u32 v168, s2, 0x2000, v188
	v_add_co_ci_u32_e32 v15, vcc_lo, 0, v189, vcc_lo
	v_add_co_ci_u32_e64 v37, vcc_lo, 0, v189, s1
	v_add_co_ci_u32_e64 v169, vcc_lo, 0, v189, s2
	s_waitcnt lgkmcnt(0)
	v_mad_u64_u32 v[20:21], null, s22, v192, 0
	v_mad_u64_u32 v[28:29], null, s20, v210, 0
	v_add_co_u32 v12, s0, 0x800, v188
	v_add_co_ci_u32_e64 v13, s0, 0, v189, s0
	v_mov_b32_e32 v16, v21
	s_mul_i32 s0, s21, 0x370
	v_mov_b32_e32 v17, v29
	s_mul_hi_u32 s1, s20, 0x370
	s_mul_i32 s2, s20, 0x370
	s_add_i32 s1, s1, s0
	global_load_dwordx4 v[24:27], v[12:13], off offset:592
	v_mad_u64_u32 v[18:19], null, s23, v192, v[16:17]
	s_mov_b32 s22, 0xfd768dbf
	s_mov_b32 s23, 0xbfd207e7
	;; [unrolled: 1-line block ×4, first 2 shown]
	v_mad_u64_u32 v[22:23], null, s21, v210, v[17:18]
	v_mov_b32_e32 v21, v18
	s_clause 0x2
	global_load_dwordx4 v[32:35], v[12:13], off offset:1472
	global_load_dwordx4 v[16:19], v[14:15], off offset:304
	;; [unrolled: 1-line block ×3, first 2 shown]
	s_mov_b32 s20, 0x7f775887
	s_mov_b32 s21, 0xbfe4f49e
	v_lshlrev_b64 v[30:31], 4, v[20:21]
	v_mov_b32_e32 v29, v22
	global_load_dwordx4 v[20:23], v[36:37], off offset:16
	v_add_co_u32 v30, vcc_lo, s18, v30
	v_lshlrev_b64 v[28:29], 4, v[28:29]
	v_add_co_ci_u32_e32 v31, vcc_lo, s19, v31, vcc_lo
	s_mov_b32 s18, 0xbb3a28a1
	s_mov_b32 s19, 0xbfe82f19
	v_add_co_u32 v38, vcc_lo, v30, v28
	v_add_co_ci_u32_e32 v39, vcc_lo, v31, v29, vcc_lo
	global_load_dwordx4 v[28:31], v[36:37], off offset:896
	v_add_co_u32 v40, vcc_lo, v38, s2
	v_add_co_ci_u32_e32 v41, vcc_lo, s1, v39, vcc_lo
	global_load_dwordx4 v[44:47], v[38:39], off
	v_add_co_u32 v42, vcc_lo, v40, s2
	global_load_dwordx4 v[48:51], v[40:41], off
	v_add_co_ci_u32_e32 v43, vcc_lo, s1, v41, vcc_lo
	v_add_co_u32 v38, vcc_lo, v42, s2
	v_add_co_ci_u32_e32 v39, vcc_lo, s1, v43, vcc_lo
	v_add_co_u32 v40, vcc_lo, v38, s2
	global_load_dwordx4 v[52:55], v[42:43], off
	v_add_co_ci_u32_e32 v41, vcc_lo, s1, v39, vcc_lo
	v_add_co_u32 v42, vcc_lo, v40, s2
	s_clause 0x1
	global_load_dwordx4 v[56:59], v[38:39], off
	global_load_dwordx4 v[60:63], v[40:41], off
	v_add_co_ci_u32_e32 v43, vcc_lo, s1, v41, vcc_lo
	v_add_co_u32 v38, vcc_lo, v42, s2
	v_add_co_ci_u32_e32 v39, vcc_lo, s1, v43, vcc_lo
	v_add_co_u32 v40, vcc_lo, v38, s2
	global_load_dwordx4 v[67:70], v[42:43], off
	v_add_co_ci_u32_e32 v41, vcc_lo, s1, v39, vcc_lo
	v_add_co_u32 v42, vcc_lo, v40, s2
	global_load_dwordx4 v[71:74], v[38:39], off
	;; [unrolled: 3-line block ×3, first 2 shown]
	v_add_co_ci_u32_e32 v65, vcc_lo, s1, v43, vcc_lo
	v_add_co_u32 v87, vcc_lo, v64, s2
	s_mov_b32 s2, 0x8eee2c13
	v_add_co_ci_u32_e32 v88, vcc_lo, s1, v65, vcc_lo
	global_load_dwordx4 v[79:82], v[42:43], off
	global_load_dwordx4 v[36:39], v[36:37], off offset:1776
	global_load_dwordx4 v[83:86], v[64:65], off
	global_load_dwordx4 v[40:43], v[168:169], off offset:608
	global_load_dwordx4 v[87:90], v[87:88], off
	s_load_dwordx4 s[8:11], s[10:11], 0x0
	s_mov_b32 s0, 0x8764f0ba
	s_mov_b32 s1, 0x3feaeb8c
	v_cmp_gt_u16_e32 vcc_lo, 11, v66
	s_waitcnt vmcnt(12)
	v_mul_f64 v[64:65], v[46:47], v[10:11]
	v_mul_f64 v[91:92], v[44:45], v[10:11]
	s_waitcnt vmcnt(11)
	v_mul_f64 v[93:94], v[50:51], v[6:7]
	v_mul_f64 v[95:96], v[48:49], v[6:7]
	;; [unrolled: 3-line block ×5, first 2 shown]
	v_fma_f64 v[44:45], v[44:45], v[8:9], v[64:65]
	v_fma_f64 v[46:47], v[46:47], v[8:9], -v[91:92]
	v_fma_f64 v[48:49], v[48:49], v[4:5], v[93:94]
	v_fma_f64 v[50:51], v[50:51], v[4:5], -v[95:96]
	s_waitcnt vmcnt(7)
	v_mul_f64 v[109:110], v[69:70], v[18:19]
	v_mul_f64 v[111:112], v[67:68], v[18:19]
	s_waitcnt vmcnt(6)
	v_mul_f64 v[113:114], v[73:74], v[14:15]
	v_mul_f64 v[115:116], v[71:72], v[14:15]
	v_fma_f64 v[52:53], v[52:53], v[0:1], v[97:98]
	v_fma_f64 v[54:55], v[54:55], v[0:1], -v[99:100]
	s_waitcnt vmcnt(5)
	v_mul_f64 v[117:118], v[77:78], v[22:23]
	v_mul_f64 v[119:120], v[75:76], v[22:23]
	v_fma_f64 v[56:57], v[56:57], v[24:25], v[101:102]
	v_fma_f64 v[58:59], v[58:59], v[24:25], -v[103:104]
	s_waitcnt vmcnt(4)
	v_mul_f64 v[121:122], v[81:82], v[30:31]
	v_mul_f64 v[123:124], v[79:80], v[30:31]
	s_waitcnt vmcnt(2)
	v_mul_f64 v[125:126], v[85:86], v[38:39]
	v_mul_f64 v[127:128], v[83:84], v[38:39]
	;; [unrolled: 3-line block ×3, first 2 shown]
	v_fma_f64 v[60:61], v[60:61], v[32:33], v[105:106]
	v_fma_f64 v[62:63], v[62:63], v[32:33], -v[107:108]
	v_fma_f64 v[67:68], v[67:68], v[16:17], v[109:110]
	v_fma_f64 v[69:70], v[69:70], v[16:17], -v[111:112]
	;; [unrolled: 2-line block ×7, first 2 shown]
	ds_write_b128 v209, v[44:47]
	ds_write_b128 v209, v[48:51] offset:880
	ds_write_b128 v209, v[52:55] offset:1760
	;; [unrolled: 1-line block ×10, first 2 shown]
	s_waitcnt lgkmcnt(0)
	s_barrier
	buffer_gl0_inv
	ds_read_b128 v[52:55], v209
	ds_read_b128 v[60:63], v209 offset:880
	ds_read_b128 v[56:59], v209 offset:1760
	;; [unrolled: 1-line block ×3, first 2 shown]
	s_waitcnt lgkmcnt(2)
	v_add_f64 v[44:45], v[52:53], v[60:61]
	v_add_f64 v[46:47], v[54:55], v[62:63]
	s_waitcnt lgkmcnt(1)
	v_add_f64 v[64:65], v[44:45], v[56:57]
	v_add_f64 v[91:92], v[46:47], v[58:59]
	ds_read_b128 v[44:47], v209 offset:8800
	ds_read_b128 v[71:74], v209 offset:4400
	;; [unrolled: 1-line block ×7, first 2 shown]
	s_waitcnt lgkmcnt(0)
	s_barrier
	buffer_gl0_inv
	v_add_f64 v[95:96], v[62:63], -v[46:47]
	v_add_f64 v[93:94], v[64:65], v[67:68]
	v_add_f64 v[91:92], v[91:92], v[69:70]
	v_add_f64 v[97:98], v[60:61], -v[44:45]
	v_add_f64 v[99:100], v[60:61], v[44:45]
	v_add_f64 v[101:102], v[62:63], v[46:47]
	;; [unrolled: 1-line block ×4, first 2 shown]
	v_add_f64 v[62:63], v[71:72], -v[75:76]
	v_add_f64 v[103:104], v[73:74], -v[77:78]
	;; [unrolled: 1-line block ×5, first 2 shown]
	v_add_f64 v[115:116], v[67:68], v[87:88]
	v_add_f64 v[67:68], v[67:68], -v[87:88]
	v_add_f64 v[56:57], v[56:57], v[48:49]
	v_add_f64 v[58:59], v[58:59], v[50:51]
	;; [unrolled: 1-line block ×5, first 2 shown]
	v_mul_f64 v[117:118], v[95:96], s[24:25]
	v_add_f64 v[93:94], v[93:94], v[79:80]
	v_add_f64 v[91:92], v[91:92], v[81:82]
	v_mul_f64 v[119:120], v[97:98], s[24:25]
	v_mul_f64 v[121:122], v[95:96], s[2:3]
	;; [unrolled: 1-line block ×11, first 2 shown]
	s_mov_b32 s3, 0x3fed1bb4
	v_mul_f64 v[137:138], v[113:114], s[16:17]
	v_mul_f64 v[139:140], v[109:110], s[30:31]
	;; [unrolled: 1-line block ×8, first 2 shown]
	v_add_f64 v[71:72], v[93:94], v[71:72]
	v_add_f64 v[73:74], v[91:92], v[73:74]
	v_mul_f64 v[91:92], v[109:110], s[18:19]
	v_mul_f64 v[93:94], v[109:110], s[34:35]
	;; [unrolled: 1-line block ×5, first 2 shown]
	v_fma_f64 v[153:154], v[99:100], s[0:1], -v[117:118]
	v_fma_f64 v[155:156], v[101:102], s[0:1], v[119:120]
	v_fma_f64 v[117:118], v[99:100], s[0:1], v[117:118]
	v_fma_f64 v[119:120], v[101:102], s[0:1], -v[119:120]
	v_fma_f64 v[157:158], v[99:100], s[6:7], -v[121:122]
	v_fma_f64 v[159:160], v[101:102], s[6:7], v[123:124]
	v_fma_f64 v[121:122], v[99:100], s[6:7], v[121:122]
	v_fma_f64 v[161:162], v[99:100], s[20:21], -v[129:130]
	v_fma_f64 v[163:164], v[101:102], s[20:21], v[131:132]
	v_fma_f64 v[129:130], v[99:100], s[20:21], v[129:130]
	v_fma_f64 v[131:132], v[101:102], s[20:21], -v[131:132]
	v_fma_f64 v[165:166], v[99:100], s[26:27], -v[95:96]
	v_fma_f64 v[170:171], v[101:102], s[26:27], v[97:98]
	v_fma_f64 v[95:96], v[99:100], s[26:27], v[95:96]
	v_fma_f64 v[97:98], v[101:102], s[26:27], -v[97:98]
	v_add_f64 v[71:72], v[71:72], v[75:76]
	v_add_f64 v[73:74], v[73:74], v[77:78]
	v_fma_f64 v[75:76], v[101:102], s[6:7], -v[123:124]
	v_fma_f64 v[77:78], v[99:100], s[12:13], -v[125:126]
	v_fma_f64 v[123:124], v[101:102], s[12:13], v[127:128]
	v_fma_f64 v[125:126], v[99:100], s[12:13], v[125:126]
	v_fma_f64 v[127:128], v[101:102], s[12:13], -v[127:128]
	v_add_f64 v[79:80], v[79:80], -v[83:84]
	v_add_f64 v[81:82], v[81:82], -v[85:86]
	v_fma_f64 v[99:100], v[56:57], s[6:7], -v[133:134]
	v_fma_f64 v[101:102], v[58:59], s[6:7], v[135:136]
	v_fma_f64 v[133:134], v[56:57], s[6:7], v[133:134]
	v_fma_f64 v[172:173], v[56:57], s[20:21], -v[91:92]
	v_fma_f64 v[91:92], v[56:57], s[20:21], v[91:92]
	v_fma_f64 v[174:175], v[56:57], s[26:27], -v[93:94]
	;; [unrolled: 2-line block ×3, first 2 shown]
	v_add_f64 v[153:154], v[52:53], v[153:154]
	v_add_f64 v[155:156], v[54:55], v[155:156]
	;; [unrolled: 1-line block ×7, first 2 shown]
	v_fma_f64 v[83:84], v[56:57], s[12:13], -v[139:140]
	v_fma_f64 v[85:86], v[56:57], s[12:13], v[139:140]
	v_fma_f64 v[139:140], v[56:57], s[0:1], -v[109:110]
	v_fma_f64 v[56:57], v[56:57], s[0:1], v[109:110]
	v_fma_f64 v[109:110], v[115:116], s[12:13], -v[137:138]
	v_add_f64 v[159:160], v[54:55], v[159:160]
	v_add_f64 v[121:122], v[52:53], v[121:122]
	;; [unrolled: 1-line block ×15, first 2 shown]
	v_fma_f64 v[176:177], v[58:59], s[20:21], v[141:142]
	v_fma_f64 v[141:142], v[58:59], s[20:21], -v[141:142]
	v_fma_f64 v[178:179], v[58:59], s[26:27], v[143:144]
	v_fma_f64 v[143:144], v[58:59], s[26:27], -v[143:144]
	v_add_f64 v[52:53], v[71:72], v[87:88]
	v_add_f64 v[54:55], v[73:74], v[89:90]
	v_fma_f64 v[71:72], v[58:59], s[12:13], v[145:146]
	v_fma_f64 v[73:74], v[58:59], s[12:13], -v[145:146]
	v_fma_f64 v[87:88], v[58:59], s[0:1], v[111:112]
	v_fma_f64 v[58:59], v[58:59], s[0:1], -v[111:112]
	v_fma_f64 v[89:90], v[115:116], s[12:13], v[137:138]
	v_fma_f64 v[111:112], v[115:116], s[26:27], -v[147:148]
	v_fma_f64 v[137:138], v[115:116], s[26:27], v[147:148]
	v_fma_f64 v[145:146], v[115:116], s[0:1], -v[149:150]
	v_fma_f64 v[147:148], v[115:116], s[0:1], v[149:150]
	v_fma_f64 v[149:150], v[115:116], s[20:21], -v[151:152]
	v_fma_f64 v[151:152], v[115:116], s[20:21], v[151:152]
	v_fma_f64 v[180:181], v[115:116], s[6:7], -v[113:114]
	v_fma_f64 v[113:114], v[115:116], s[6:7], v[113:114]
	v_mul_f64 v[115:116], v[67:68], s[16:17]
	v_mul_f64 v[182:183], v[67:68], s[34:35]
	;; [unrolled: 1-line block ×11, first 2 shown]
	v_add_f64 v[91:92], v[91:92], v[121:122]
	v_add_f64 v[121:122], v[178:179], v[123:124]
	;; [unrolled: 1-line block ×5, first 2 shown]
	v_mul_f64 v[125:126], v[103:104], s[22:23]
	v_mul_f64 v[127:128], v[103:104], s[28:29]
	;; [unrolled: 1-line block ×3, first 2 shown]
	v_add_f64 v[99:100], v[99:100], v[153:154]
	v_add_f64 v[101:102], v[101:102], v[155:156]
	v_add_f64 v[77:78], v[174:175], v[77:78]
	v_fma_f64 v[190:191], v[69:70], s[12:13], v[115:116]
	v_fma_f64 v[115:116], v[69:70], s[12:13], -v[115:116]
	v_fma_f64 v[193:194], v[69:70], s[26:27], v[182:183]
	v_fma_f64 v[182:183], v[69:70], s[26:27], -v[182:183]
	;; [unrolled: 2-line block ×5, first 2 shown]
	v_mul_f64 v[69:70], v[81:82], s[18:19]
	v_mul_f64 v[81:82], v[81:82], s[2:3]
	v_fma_f64 v[211:212], v[105:106], s[12:13], -v[201:202]
	v_fma_f64 v[201:202], v[105:106], s[12:13], v[201:202]
	v_fma_f64 v[213:214], v[105:106], s[0:1], -v[203:204]
	v_fma_f64 v[203:204], v[105:106], s[0:1], v[203:204]
	;; [unrolled: 2-line block ×3, first 2 shown]
	v_fma_f64 v[227:228], v[107:108], s[12:13], v[219:220]
	v_fma_f64 v[219:220], v[107:108], s[12:13], -v[219:220]
	v_fma_f64 v[229:230], v[107:108], s[0:1], v[221:222]
	v_fma_f64 v[221:222], v[107:108], s[0:1], -v[221:222]
	;; [unrolled: 2-line block ×3, first 2 shown]
	v_add_f64 v[83:84], v[83:84], v[161:162]
	v_add_f64 v[71:72], v[71:72], v[163:164]
	;; [unrolled: 1-line block ×3, first 2 shown]
	v_fma_f64 v[141:142], v[64:65], s[26:27], -v[125:126]
	v_fma_f64 v[125:126], v[64:65], s[26:27], v[125:126]
	v_fma_f64 v[143:144], v[64:65], s[0:1], -v[127:128]
	v_fma_f64 v[127:128], v[64:65], s[0:1], v[127:128]
	v_fma_f64 v[153:154], v[64:65], s[20:21], -v[129:130]
	v_fma_f64 v[207:208], v[105:106], s[20:21], -v[69:70]
	v_fma_f64 v[69:70], v[105:106], s[20:21], v[69:70]
	v_fma_f64 v[217:218], v[105:106], s[6:7], -v[81:82]
	v_fma_f64 v[81:82], v[105:106], s[6:7], v[81:82]
	v_mul_f64 v[105:106], v[79:80], s[18:19]
	v_mul_f64 v[79:80], v[79:80], s[2:3]
	v_fma_f64 v[129:130], v[64:65], s[20:21], v[129:130]
	v_add_f64 v[87:88], v[87:88], v[170:171]
	v_add_f64 v[56:57], v[56:57], v[95:96]
	v_add_f64 v[58:59], v[58:59], v[97:98]
	v_add_f64 v[73:74], v[73:74], v[131:132]
	v_add_f64 v[95:96], v[109:110], v[99:100]
	v_add_f64 v[97:98], v[190:191], v[101:102]
	v_add_f64 v[93:94], v[113:114], v[93:94]
	v_mul_f64 v[113:114], v[62:63], s[28:29]
	v_add_f64 v[77:78], v[180:181], v[77:78]
	v_add_f64 v[109:110], v[199:200], v[121:122]
	;; [unrolled: 1-line block ×8, first 2 shown]
	v_fma_f64 v[225:226], v[107:108], s[20:21], v[105:106]
	v_fma_f64 v[105:106], v[107:108], s[20:21], -v[105:106]
	v_fma_f64 v[233:234], v[107:108], s[6:7], v[79:80]
	v_fma_f64 v[79:80], v[107:108], s[6:7], -v[79:80]
	v_add_f64 v[107:108], v[133:134], v[117:118]
	v_add_f64 v[117:118], v[135:136], v[119:120]
	v_mul_f64 v[135:136], v[103:104], s[16:17]
	v_mul_f64 v[103:104], v[103:104], s[2:3]
	v_add_f64 v[119:120], v[172:173], v[157:158]
	v_add_f64 v[133:134], v[176:177], v[159:160]
	;; [unrolled: 1-line block ×6, first 2 shown]
	v_fma_f64 v[121:122], v[60:61], s[0:1], v[113:114]
	v_fma_f64 v[113:114], v[60:61], s[0:1], -v[113:114]
	v_add_f64 v[77:78], v[213:214], v[77:78]
	v_add_f64 v[83:84], v[215:216], v[83:84]
	;; [unrolled: 1-line block ×10, first 2 shown]
	v_fma_f64 v[155:156], v[64:65], s[12:13], -v[135:136]
	v_fma_f64 v[135:136], v[64:65], s[12:13], v[135:136]
	v_fma_f64 v[157:158], v[64:65], s[6:7], -v[103:104]
	v_fma_f64 v[64:65], v[64:65], s[6:7], v[103:104]
	v_add_f64 v[103:104], v[139:140], v[165:166]
	v_add_f64 v[101:102], v[111:112], v[119:120]
	v_mul_f64 v[111:112], v[62:63], s[22:23]
	v_mul_f64 v[115:116], v[62:63], s[18:19]
	;; [unrolled: 1-line block ×4, first 2 shown]
	v_add_f64 v[107:108], v[193:194], v[133:134]
	v_add_f64 v[87:88], v[233:234], v[87:88]
	;; [unrolled: 1-line block ×5, first 2 shown]
	s_load_dwordx2 s[2:3], s[4:5], 0x38
	v_add_f64 v[46:47], v[151:152], v[46:47]
	v_add_f64 v[69:70], v[69:70], v[89:90]
	v_add_f64 v[89:90], v[105:106], v[99:100]
	v_add_f64 v[99:100], v[229:230], v[109:110]
	v_add_f64 v[105:106], v[81:82], v[56:57]
	v_add_f64 v[56:57], v[127:128], v[91:92]
	v_add_f64 v[75:76], v[64:65], v[85:86]
	v_add_f64 v[103:104], v[149:150], v[103:104]
	v_add_f64 v[149:150], v[52:53], v[48:49]
	v_fma_f64 v[119:120], v[60:61], s[26:27], v[111:112]
	v_fma_f64 v[111:112], v[60:61], s[26:27], -v[111:112]
	v_fma_f64 v[123:124], v[60:61], s[20:21], v[115:116]
	v_fma_f64 v[115:116], v[60:61], s[20:21], -v[115:116]
	v_fma_f64 v[131:132], v[60:61], s[12:13], v[117:118]
	v_fma_f64 v[117:118], v[60:61], s[12:13], -v[117:118]
	v_fma_f64 v[133:134], v[60:61], s[6:7], v[62:63]
	v_fma_f64 v[137:138], v[60:61], s[6:7], -v[62:63]
	v_add_f64 v[60:61], v[207:208], v[95:96]
	v_add_f64 v[62:63], v[225:226], v[97:98]
	;; [unrolled: 1-line block ×7, first 2 shown]
	v_mov_b32_e32 v64, 4
	v_mul_lo_u16 v65, v66, 11
	v_add_f64 v[83:84], v[135:136], v[105:106]
	v_add_f64 v[103:104], v[217:218], v[103:104]
	;; [unrolled: 1-line block ×3, first 2 shown]
	v_lshlrev_b32_sdwa v212, v64, v65 dst_sel:DWORD dst_unused:UNUSED_PAD src0_sel:DWORD src1_sel:WORD_0
	v_add_f64 v[110:111], v[111:112], v[89:90]
	v_add_f64 v[69:70], v[115:116], v[145:146]
	;; [unrolled: 1-line block ×13, first 2 shown]
                                        ; implicit-def: $vgpr100_vgpr101
	v_add_f64 v[79:80], v[155:156], v[103:104]
	ds_write_b128 v212, v[48:51] offset:16
	ds_write_b128 v212, v[52:55] offset:32
	;; [unrolled: 1-line block ×10, first 2 shown]
	ds_write_b128 v212, v[44:47]
	s_waitcnt lgkmcnt(0)
	s_barrier
	buffer_gl0_inv
	ds_read_b128 v[96:99], v209
	ds_read_b128 v[92:95], v209 offset:880
	ds_read_b128 v[72:75], v209 offset:1936
	;; [unrolled: 1-line block ×9, first 2 shown]
                                        ; implicit-def: $vgpr52_vgpr53
                                        ; implicit-def: $vgpr56_vgpr57
                                        ; implicit-def: $vgpr104_vgpr105
	s_and_saveexec_b32 s0, vcc_lo
	s_cbranch_execz .LBB0_3
; %bb.2:
	ds_read_b128 v[108:111], v209 offset:1760
	ds_read_b128 v[52:55], v209 offset:3696
	;; [unrolled: 1-line block ×5, first 2 shown]
.LBB0_3:
	s_or_b32 exec_lo, exec_lo, s0
	v_and_b32_e32 v60, 0xff, v210
	s_mov_b32 s12, 0x134454ff
	s_mov_b32 s13, 0x3fee6f0e
	s_mov_b32 s7, 0xbfee6f0e
	s_mov_b32 s6, s12
	v_mul_lo_u16 v60, 0x75, v60
	s_mov_b32 s0, 0x4755a5e
	s_mov_b32 s1, 0x3fe2cf23
	;; [unrolled: 1-line block ×4, first 2 shown]
	v_lshrrev_b16 v60, 8, v60
	s_mov_b32 s16, 0x372fe950
	s_mov_b32 s17, 0x3fd3c6ef
	v_sub_nc_u16 v61, v210, v60
	v_lshrrev_b16 v61, 1, v61
	v_and_b32_e32 v61, 0x7f, v61
	v_add_nc_u16 v60, v61, v60
	v_lshrrev_b16 v170, 3, v60
	v_mul_lo_u16 v60, v170, 11
	v_sub_nc_u16 v60, v210, v60
	v_and_b32_e32 v171, 0xff, v60
	v_lshlrev_b32_e32 v114, 6, v171
	s_clause 0x1
	global_load_dwordx4 v[60:63], v114, s[14:15]
	global_load_dwordx4 v[64:67], v114, s[14:15] offset:16
	s_waitcnt vmcnt(1) lgkmcnt(7)
	v_mul_f64 v[112:113], v[74:75], v[62:63]
	v_fma_f64 v[120:121], v[72:73], v[60:61], -v[112:113]
	v_mul_f64 v[72:73], v[72:73], v[62:63]
	v_fma_f64 v[122:123], v[74:75], v[60:61], v[72:73]
	s_waitcnt vmcnt(0) lgkmcnt(5)
	v_mul_f64 v[72:73], v[70:71], v[66:67]
	v_fma_f64 v[124:125], v[68:69], v[64:65], -v[72:73]
	v_mul_f64 v[68:69], v[68:69], v[66:67]
	v_fma_f64 v[126:127], v[70:71], v[64:65], v[68:69]
	s_clause 0x1
	global_load_dwordx4 v[68:71], v114, s[14:15] offset:32
	global_load_dwordx4 v[72:75], v114, s[14:15] offset:48
	s_waitcnt vmcnt(1) lgkmcnt(3)
	v_mul_f64 v[112:113], v[82:83], v[70:71]
	v_fma_f64 v[128:129], v[80:81], v[68:69], -v[112:113]
	v_mul_f64 v[80:81], v[80:81], v[70:71]
	v_add_f64 v[180:181], v[124:125], -v[128:129]
	v_fma_f64 v[130:131], v[82:83], v[68:69], v[80:81]
	s_waitcnt vmcnt(0) lgkmcnt(1)
	v_mul_f64 v[80:81], v[78:79], v[74:75]
	v_add_f64 v[138:139], v[126:127], -v[130:131]
	v_fma_f64 v[132:133], v[76:77], v[72:73], -v[80:81]
	v_mul_f64 v[76:77], v[76:77], v[74:75]
	v_add_f64 v[178:179], v[120:121], -v[132:133]
	v_fma_f64 v[134:135], v[78:79], v[72:73], v[76:77]
	v_add_nc_u16 v76, v210, 55
	v_and_b32_e32 v77, 0xff, v76
	v_mul_lo_u16 v77, 0x75, v77
	v_lshrrev_b16 v77, 8, v77
	v_sub_nc_u16 v78, v76, v77
	v_add_f64 v[136:137], v[122:123], -v[134:135]
	v_lshrrev_b16 v78, 1, v78
	v_and_b32_e32 v78, 0x7f, v78
	v_add_nc_u16 v77, v78, v77
	v_lshrrev_b16 v173, 3, v77
	v_mul_lo_u16 v77, v173, 11
	v_sub_nc_u16 v76, v76, v77
	v_and_b32_e32 v172, 0xff, v76
	v_lshlrev_b32_e32 v114, 6, v172
	s_clause 0x1
	global_load_dwordx4 v[76:79], v114, s[14:15]
	global_load_dwordx4 v[80:83], v114, s[14:15] offset:16
	s_waitcnt vmcnt(1)
	v_mul_f64 v[112:113], v[90:91], v[78:79]
	v_fma_f64 v[140:141], v[88:89], v[76:77], -v[112:113]
	v_mul_f64 v[88:89], v[88:89], v[78:79]
	v_fma_f64 v[142:143], v[90:91], v[76:77], v[88:89]
	s_waitcnt vmcnt(0)
	v_mul_f64 v[88:89], v[86:87], v[82:83]
	v_fma_f64 v[144:145], v[84:85], v[80:81], -v[88:89]
	v_mul_f64 v[84:85], v[84:85], v[82:83]
	v_fma_f64 v[146:147], v[86:87], v[80:81], v[84:85]
	s_clause 0x1
	global_load_dwordx4 v[84:87], v114, s[14:15] offset:32
	global_load_dwordx4 v[88:91], v114, s[14:15] offset:48
	s_waitcnt vmcnt(1)
	v_mul_f64 v[112:113], v[50:51], v[86:87]
	v_fma_f64 v[148:149], v[48:49], v[84:85], -v[112:113]
	v_mul_f64 v[48:49], v[48:49], v[86:87]
	v_fma_f64 v[150:151], v[50:51], v[84:85], v[48:49]
	s_waitcnt vmcnt(0) lgkmcnt(0)
	v_mul_f64 v[48:49], v[46:47], v[90:91]
	v_fma_f64 v[174:175], v[44:45], v[88:89], -v[48:49]
	v_mul_f64 v[44:45], v[44:45], v[90:91]
	v_fma_f64 v[176:177], v[46:47], v[88:89], v[44:45]
	v_add_nc_u16 v44, v210, 0x6e
	v_and_b32_e32 v45, 0xff, v44
	v_mul_lo_u16 v45, 0x75, v45
	v_lshrrev_b16 v45, 8, v45
	v_sub_nc_u16 v46, v44, v45
	v_lshrrev_b16 v46, 1, v46
	v_and_b32_e32 v46, 0x7f, v46
	v_add_nc_u16 v45, v46, v45
	v_lshrrev_b16 v45, 3, v45
	v_mul_lo_u16 v45, v45, 11
	v_sub_nc_u16 v211, v44, v45
	v_lshlrev_b16 v44, 2, v211
	v_and_b32_e32 v44, 0xfc, v44
	v_lshlrev_b32_e32 v114, 4, v44
	s_clause 0x1
	global_load_dwordx4 v[44:47], v114, s[14:15]
	global_load_dwordx4 v[48:51], v114, s[14:15] offset:16
	s_waitcnt vmcnt(1)
	v_mul_f64 v[112:113], v[54:55], v[46:47]
	v_fma_f64 v[152:153], v[52:53], v[44:45], -v[112:113]
	v_mul_f64 v[52:53], v[52:53], v[46:47]
	v_fma_f64 v[158:159], v[54:55], v[44:45], v[52:53]
	s_waitcnt vmcnt(0)
	v_mul_f64 v[52:53], v[58:59], v[50:51]
	v_fma_f64 v[154:155], v[56:57], v[48:49], -v[52:53]
	v_mul_f64 v[52:53], v[56:57], v[50:51]
	v_fma_f64 v[156:157], v[58:59], v[48:49], v[52:53]
	s_clause 0x1
	global_load_dwordx4 v[52:55], v114, s[14:15] offset:32
	global_load_dwordx4 v[56:59], v114, s[14:15] offset:48
	s_waitcnt vmcnt(0)
	s_barrier
	buffer_gl0_inv
	v_mul_f64 v[112:113], v[102:103], v[54:55]
	v_fma_f64 v[160:161], v[100:101], v[52:53], -v[112:113]
	v_mul_f64 v[100:101], v[100:101], v[54:55]
	v_fma_f64 v[164:165], v[102:103], v[52:53], v[100:101]
	v_mul_f64 v[100:101], v[106:107], v[58:59]
	v_add_f64 v[102:103], v[132:133], -v[128:129]
	v_fma_f64 v[162:163], v[104:105], v[56:57], -v[100:101]
	v_mul_f64 v[100:101], v[104:105], v[58:59]
	v_add_f64 v[104:105], v[134:135], -v[130:131]
	v_fma_f64 v[166:167], v[106:107], v[56:57], v[100:101]
	v_add_f64 v[100:101], v[120:121], -v[124:125]
	v_add_f64 v[106:107], v[126:127], v[130:131]
	v_add_f64 v[182:183], v[164:165], -v[166:167]
	v_add_f64 v[100:101], v[100:101], v[102:103]
	v_add_f64 v[102:103], v[122:123], -v[126:127]
	v_fma_f64 v[106:107], v[106:107], -0.5, v[98:99]
	v_add_f64 v[102:103], v[102:103], v[104:105]
	v_add_f64 v[104:105], v[124:125], v[128:129]
	v_fma_f64 v[114:115], v[178:179], s[6:7], v[106:107]
	v_fma_f64 v[106:107], v[178:179], s[12:13], v[106:107]
	v_fma_f64 v[104:105], v[104:105], -0.5, v[96:97]
	v_fma_f64 v[114:115], v[180:181], s[4:5], v[114:115]
	v_fma_f64 v[106:107], v[180:181], s[0:1], v[106:107]
	;; [unrolled: 1-line block ×6, first 2 shown]
	v_add_f64 v[102:103], v[122:123], v[134:135]
	v_add_f64 v[106:107], v[126:127], -v[122:123]
	v_fma_f64 v[112:113], v[138:139], s[0:1], v[112:113]
	v_fma_f64 v[104:105], v[138:139], s[4:5], v[104:105]
	v_fma_f64 v[102:103], v[102:103], -0.5, v[98:99]
	v_add_f64 v[98:99], v[98:99], v[122:123]
	v_fma_f64 v[112:113], v[100:101], s[16:17], v[112:113]
	v_fma_f64 v[116:117], v[100:101], s[16:17], v[104:105]
	v_add_f64 v[100:101], v[120:121], v[132:133]
	v_add_f64 v[104:105], v[124:125], -v[120:121]
	v_add_f64 v[98:99], v[98:99], v[126:127]
	v_fma_f64 v[126:127], v[180:181], s[12:13], v[102:103]
	v_fma_f64 v[102:103], v[180:181], s[6:7], v[102:103]
	v_add_f64 v[180:181], v[144:145], -v[148:149]
	v_fma_f64 v[100:101], v[100:101], -0.5, v[96:97]
	v_add_f64 v[96:97], v[96:97], v[120:121]
	v_add_f64 v[98:99], v[98:99], v[130:131]
	v_fma_f64 v[102:103], v[178:179], s[0:1], v[102:103]
	v_add_f64 v[96:97], v[96:97], v[124:125]
	v_add_f64 v[124:125], v[128:129], -v[132:133]
	v_add_f64 v[122:123], v[98:99], v[134:135]
	v_fma_f64 v[98:99], v[138:139], s[6:7], v[100:101]
	v_fma_f64 v[100:101], v[138:139], s[12:13], v[100:101]
	v_add_f64 v[96:97], v[96:97], v[128:129]
	v_add_f64 v[104:105], v[104:105], v[124:125]
	v_fma_f64 v[98:99], v[136:137], s[0:1], v[98:99]
	v_fma_f64 v[100:101], v[136:137], s[4:5], v[100:101]
	v_add_f64 v[120:121], v[96:97], v[132:133]
	v_add_f64 v[96:97], v[130:131], -v[134:135]
	v_fma_f64 v[124:125], v[104:105], s[16:17], v[98:99]
	v_add_f64 v[98:99], v[174:175], -v[148:149]
	v_fma_f64 v[132:133], v[104:105], s[16:17], v[100:101]
	v_add_f64 v[100:101], v[176:177], -v[150:151]
	v_add_f64 v[104:105], v[142:143], -v[176:177]
	v_add_f64 v[96:97], v[106:107], v[96:97]
	v_fma_f64 v[106:107], v[178:179], s[4:5], v[126:127]
	v_add_f64 v[178:179], v[140:141], -v[174:175]
	v_fma_f64 v[134:135], v[96:97], s[16:17], v[102:103]
	v_fma_f64 v[126:127], v[96:97], s[16:17], v[106:107]
	v_add_f64 v[96:97], v[140:141], -v[144:145]
	v_add_f64 v[102:103], v[146:147], v[150:151]
	v_add_f64 v[106:107], v[146:147], -v[150:151]
	v_add_f64 v[96:97], v[96:97], v[98:99]
	v_add_f64 v[98:99], v[142:143], -v[146:147]
	v_fma_f64 v[102:103], v[102:103], -0.5, v[94:95]
	v_add_f64 v[98:99], v[98:99], v[100:101]
	v_add_f64 v[100:101], v[144:145], v[148:149]
	v_fma_f64 v[130:131], v[178:179], s[6:7], v[102:103]
	v_fma_f64 v[102:103], v[178:179], s[12:13], v[102:103]
	v_fma_f64 v[100:101], v[100:101], -0.5, v[92:93]
	v_fma_f64 v[130:131], v[180:181], s[4:5], v[130:131]
	v_fma_f64 v[102:103], v[180:181], s[0:1], v[102:103]
	;; [unrolled: 1-line block ×6, first 2 shown]
	v_add_f64 v[98:99], v[142:143], v[176:177]
	v_add_f64 v[102:103], v[146:147], -v[142:143]
	v_fma_f64 v[128:129], v[106:107], s[0:1], v[128:129]
	v_fma_f64 v[100:101], v[106:107], s[4:5], v[100:101]
	v_fma_f64 v[98:99], v[98:99], -0.5, v[94:95]
	v_add_f64 v[94:95], v[94:95], v[142:143]
	v_fma_f64 v[136:137], v[96:97], s[16:17], v[128:129]
	v_fma_f64 v[128:129], v[96:97], s[16:17], v[100:101]
	v_add_f64 v[96:97], v[140:141], v[174:175]
	v_add_f64 v[100:101], v[144:145], -v[140:141]
	v_add_f64 v[94:95], v[94:95], v[146:147]
	v_fma_f64 v[96:97], v[96:97], -0.5, v[92:93]
	v_add_f64 v[92:93], v[92:93], v[140:141]
	v_add_f64 v[94:95], v[94:95], v[150:151]
	;; [unrolled: 1-line block ×3, first 2 shown]
	v_add_f64 v[144:145], v[148:149], -v[174:175]
	v_add_f64 v[142:143], v[94:95], v[176:177]
	v_fma_f64 v[94:95], v[106:107], s[6:7], v[96:97]
	v_fma_f64 v[96:97], v[106:107], s[12:13], v[96:97]
	;; [unrolled: 1-line block ×4, first 2 shown]
	v_add_f64 v[92:93], v[92:93], v[148:149]
	v_add_f64 v[100:101], v[100:101], v[144:145]
	v_fma_f64 v[94:95], v[104:105], s[0:1], v[94:95]
	v_fma_f64 v[96:97], v[104:105], s[4:5], v[96:97]
	v_add_f64 v[104:105], v[158:159], -v[166:167]
	v_fma_f64 v[98:99], v[178:179], s[0:1], v[98:99]
	v_add_f64 v[140:141], v[92:93], v[174:175]
	v_add_f64 v[92:93], v[150:151], -v[176:177]
	v_add_f64 v[174:175], v[152:153], -v[162:163]
	v_fma_f64 v[148:149], v[100:101], s[16:17], v[94:95]
	v_add_f64 v[94:95], v[162:163], -v[160:161]
	v_fma_f64 v[144:145], v[100:101], s[16:17], v[96:97]
	v_add_f64 v[176:177], v[154:155], -v[160:161]
	v_add_f64 v[92:93], v[102:103], v[92:93]
	v_fma_f64 v[102:103], v[178:179], s[4:5], v[106:107]
	v_add_f64 v[106:107], v[156:157], -v[164:165]
	v_fma_f64 v[146:147], v[92:93], s[16:17], v[98:99]
	v_fma_f64 v[150:151], v[92:93], s[16:17], v[102:103]
	v_add_f64 v[92:93], v[152:153], -v[154:155]
	v_add_f64 v[96:97], v[92:93], v[94:95]
	v_add_f64 v[92:93], v[158:159], -v[156:157]
	v_add_f64 v[94:95], v[166:167], -v[164:165]
	v_add_f64 v[98:99], v[92:93], v[94:95]
	v_add_f64 v[92:93], v[154:155], v[160:161]
	v_fma_f64 v[100:101], v[92:93], -0.5, v[108:109]
	v_add_f64 v[92:93], v[156:157], v[164:165]
	v_fma_f64 v[102:103], v[92:93], -0.5, v[110:111]
	v_fma_f64 v[92:93], v[104:105], s[12:13], v[100:101]
	v_fma_f64 v[100:101], v[104:105], s[6:7], v[100:101]
	;; [unrolled: 1-line block ×10, first 2 shown]
	v_add_f64 v[100:101], v[154:155], -v[152:153]
	v_fma_f64 v[94:95], v[98:99], s[16:17], v[94:95]
	v_fma_f64 v[98:99], v[98:99], s[16:17], v[102:103]
	v_add_f64 v[102:103], v[160:161], -v[162:163]
	v_add_f64 v[178:179], v[100:101], v[102:103]
	v_add_f64 v[100:101], v[152:153], v[162:163]
	v_fma_f64 v[100:101], v[100:101], -0.5, v[108:109]
	v_fma_f64 v[102:103], v[106:107], s[6:7], v[100:101]
	v_fma_f64 v[100:101], v[106:107], s[12:13], v[100:101]
	v_add_f64 v[106:107], v[158:159], v[166:167]
	v_fma_f64 v[102:103], v[104:105], s[0:1], v[102:103]
	v_fma_f64 v[104:105], v[104:105], s[4:5], v[100:101]
	v_fma_f64 v[106:107], v[106:107], -0.5, v[110:111]
	v_fma_f64 v[100:101], v[178:179], s[16:17], v[102:103]
	v_fma_f64 v[104:105], v[178:179], s[16:17], v[104:105]
	;; [unrolled: 1-line block ×4, first 2 shown]
	v_add_f64 v[176:177], v[156:157], -v[158:159]
	v_fma_f64 v[180:181], v[174:175], s[4:5], v[180:181]
	v_fma_f64 v[106:107], v[174:175], s[0:1], v[106:107]
	v_add_f64 v[176:177], v[176:177], v[182:183]
	v_mov_b32_e32 v174, 55
	v_mul_u32_u24_sdwa v170, v170, v174 dst_sel:DWORD dst_unused:UNUSED_PAD src0_sel:WORD_0 src1_sel:DWORD
	v_add_lshl_u32 v213, v170, v171, 4
	ds_write_b128 v213, v[120:123]
	ds_write_b128 v213, v[112:115] offset:176
	ds_write_b128 v213, v[124:127] offset:352
	;; [unrolled: 1-line block ×4, first 2 shown]
	v_mul_u32_u24_sdwa v112, v173, v174 dst_sel:DWORD dst_unused:UNUSED_PAD src0_sel:WORD_0 src1_sel:DWORD
	v_fma_f64 v[102:103], v[176:177], s[16:17], v[180:181]
	v_fma_f64 v[106:107], v[176:177], s[16:17], v[106:107]
	v_add_lshl_u32 v214, v112, v172, 4
	ds_write_b128 v214, v[140:143]
	ds_write_b128 v214, v[136:139] offset:176
	ds_write_b128 v214, v[148:151] offset:352
	;; [unrolled: 1-line block ×4, first 2 shown]
	s_and_saveexec_b32 s0, vcc_lo
	s_cbranch_execz .LBB0_5
; %bb.4:
	v_add_f64 v[110:111], v[110:111], v[158:159]
	v_add_f64 v[108:109], v[108:109], v[152:153]
	v_mov_b32_e32 v112, 4
	v_lshlrev_b32_sdwa v112, v112, v211 dst_sel:DWORD dst_unused:UNUSED_PAD src0_sel:DWORD src1_sel:BYTE_0
	v_add_f64 v[110:111], v[110:111], v[156:157]
	v_add_f64 v[108:109], v[108:109], v[154:155]
	;; [unrolled: 1-line block ×6, first 2 shown]
	ds_write_b128 v112, v[92:95] offset:8976
	ds_write_b128 v112, v[100:103] offset:9152
	;; [unrolled: 1-line block ×5, first 2 shown]
.LBB0_5:
	s_or_b32 exec_lo, exec_lo, s0
	v_mad_u64_u32 v[186:187], null, 0xa0, v210, s[14:15]
	s_waitcnt lgkmcnt(0)
	s_barrier
	buffer_gl0_inv
	ds_read_b128 v[152:155], v209
	ds_read_b128 v[120:123], v209 offset:880
	ds_read_b128 v[124:127], v209 offset:1760
	;; [unrolled: 1-line block ×10, first 2 shown]
	s_mov_b32 s20, 0xf8bb580b
	s_mov_b32 s14, 0x8eee2c13
	s_clause 0x3
	global_load_dwordx4 v[108:111], v[186:187], off offset:752
	global_load_dwordx4 v[112:115], v[186:187], off offset:736
	;; [unrolled: 1-line block ×4, first 2 shown]
	s_mov_b32 s4, 0x43842ef
	s_mov_b32 s22, 0xbb3a28a1
	;; [unrolled: 1-line block ×27, first 2 shown]
	s_waitcnt vmcnt(0) lgkmcnt(9)
	v_mul_f64 v[156:157], v[122:123], v[134:135]
	v_fma_f64 v[190:191], v[120:121], v[132:133], -v[156:157]
	v_mul_f64 v[120:121], v[120:121], v[134:135]
	v_fma_f64 v[205:206], v[122:123], v[132:133], v[120:121]
	s_waitcnt lgkmcnt(8)
	v_mul_f64 v[120:121], v[126:127], v[118:119]
	v_fma_f64 v[182:183], v[124:125], v[116:117], -v[120:121]
	v_mul_f64 v[120:121], v[124:125], v[118:119]
	v_fma_f64 v[180:181], v[126:127], v[116:117], v[120:121]
	s_waitcnt lgkmcnt(7)
	;; [unrolled: 5-line block ×3, first 2 shown]
	v_mul_f64 v[120:121], v[138:139], v[110:111]
	v_fma_f64 v[170:171], v[136:137], v[108:109], -v[120:121]
	v_mul_f64 v[120:121], v[136:137], v[110:111]
	v_fma_f64 v[160:161], v[138:139], v[108:109], v[120:121]
	s_clause 0x3
	global_load_dwordx4 v[128:131], v[186:187], off offset:816
	global_load_dwordx4 v[124:127], v[186:187], off offset:800
	;; [unrolled: 1-line block ×4, first 2 shown]
	s_waitcnt vmcnt(0) lgkmcnt(5)
	v_mul_f64 v[156:157], v[142:143], v[138:139]
	v_fma_f64 v[162:163], v[140:141], v[136:137], -v[156:157]
	v_mul_f64 v[140:141], v[140:141], v[138:139]
	v_fma_f64 v[156:157], v[142:143], v[136:137], v[140:141]
	s_waitcnt lgkmcnt(4)
	v_mul_f64 v[140:141], v[146:147], v[122:123]
	v_fma_f64 v[164:165], v[144:145], v[120:121], -v[140:141]
	v_mul_f64 v[140:141], v[144:145], v[122:123]
	v_fma_f64 v[158:159], v[146:147], v[120:121], v[140:141]
	s_waitcnt lgkmcnt(3)
	;; [unrolled: 5-line block ×3, first 2 shown]
	v_mul_f64 v[140:141], v[195:196], v[130:131]
	v_add_f64 v[150:151], v[154:155], v[205:206]
	v_fma_f64 v[184:185], v[193:194], v[128:129], -v[140:141]
	v_mul_f64 v[140:141], v[193:194], v[130:131]
	v_add_f64 v[150:151], v[150:151], v[180:181]
	v_fma_f64 v[176:177], v[195:196], v[128:129], v[140:141]
	s_clause 0x1
	global_load_dwordx4 v[140:143], v[186:187], off offset:848
	global_load_dwordx4 v[144:147], v[186:187], off offset:832
	v_add_f64 v[150:151], v[150:151], v[172:173]
	v_add_f64 v[150:151], v[150:151], v[160:161]
	;; [unrolled: 1-line block ×6, first 2 shown]
	s_waitcnt vmcnt(0) lgkmcnt(1)
	v_mul_f64 v[148:149], v[199:200], v[146:147]
	v_fma_f64 v[186:187], v[197:198], v[144:145], -v[148:149]
	v_mul_f64 v[148:149], v[197:198], v[146:147]
	v_fma_f64 v[193:194], v[199:200], v[144:145], v[148:149]
	s_waitcnt lgkmcnt(0)
	v_mul_f64 v[148:149], v[203:204], v[142:143]
	v_add_f64 v[150:151], v[150:151], v[193:194]
	v_fma_f64 v[195:196], v[201:202], v[140:141], -v[148:149]
	v_mul_f64 v[148:149], v[201:202], v[142:143]
	v_add_f64 v[199:200], v[190:191], v[195:196]
	v_fma_f64 v[197:198], v[203:204], v[140:141], v[148:149]
	v_add_f64 v[148:149], v[152:153], v[190:191]
	v_add_f64 v[190:191], v[190:191], -v[195:196]
	v_add_f64 v[150:151], v[150:151], v[197:198]
	v_add_f64 v[148:149], v[148:149], v[182:183]
	;; [unrolled: 1-line block ×3, first 2 shown]
	v_mul_f64 v[219:220], v[190:191], s[14:15]
	v_mul_f64 v[227:228], v[190:191], s[4:5]
	;; [unrolled: 1-line block ×3, first 2 shown]
	v_add_f64 v[148:149], v[148:149], v[178:179]
	v_fma_f64 v[221:222], v[201:202], s[12:13], v[219:220]
	v_fma_f64 v[219:220], v[201:202], s[12:13], -v[219:220]
	v_fma_f64 v[229:230], v[201:202], s[6:7], v[227:228]
	v_fma_f64 v[227:228], v[201:202], s[6:7], -v[227:228]
	;; [unrolled: 2-line block ×3, first 2 shown]
	v_add_f64 v[148:149], v[148:149], v[170:171]
	v_add_f64 v[221:222], v[154:155], v[221:222]
	;; [unrolled: 1-line block ×13, first 2 shown]
	v_add_f64 v[195:196], v[205:206], -v[197:198]
	v_mul_f64 v[205:206], v[190:191], s[20:21]
	v_mul_f64 v[190:191], v[190:191], s[26:27]
	;; [unrolled: 1-line block ×7, first 2 shown]
	v_fma_f64 v[207:208], v[201:202], s[16:17], v[205:206]
	v_fma_f64 v[205:206], v[201:202], s[16:17], -v[205:206]
	v_fma_f64 v[241:242], v[201:202], s[28:29], v[190:191]
	v_fma_f64 v[190:191], v[201:202], s[28:29], -v[190:191]
	v_fma_f64 v[203:204], v[199:200], s[16:17], -v[197:198]
	v_fma_f64 v[197:198], v[199:200], s[16:17], v[197:198]
	v_fma_f64 v[217:218], v[199:200], s[12:13], -v[215:216]
	v_fma_f64 v[215:216], v[199:200], s[12:13], v[215:216]
	;; [unrolled: 2-line block ×5, first 2 shown]
	v_add_f64 v[207:208], v[154:155], v[207:208]
	v_add_f64 v[205:206], v[154:155], v[205:206]
	;; [unrolled: 1-line block ×5, first 2 shown]
	v_add_f64 v[182:183], v[182:183], -v[186:187]
	v_add_f64 v[203:204], v[152:153], v[203:204]
	v_add_f64 v[197:198], v[152:153], v[197:198]
	;; [unrolled: 1-line block ×11, first 2 shown]
	v_add_f64 v[180:181], v[180:181], -v[193:194]
	v_mul_f64 v[199:200], v[182:183], s[14:15]
	v_mul_f64 v[186:187], v[180:181], s[14:15]
	v_fma_f64 v[201:202], v[195:196], s[12:13], v[199:200]
	v_fma_f64 v[193:194], v[190:191], s[12:13], -v[186:187]
	v_fma_f64 v[186:187], v[190:191], s[12:13], v[186:187]
	v_add_f64 v[201:202], v[201:202], v[207:208]
	v_add_f64 v[193:194], v[193:194], v[203:204]
	;; [unrolled: 1-line block ×3, first 2 shown]
	v_fma_f64 v[197:198], v[195:196], s[12:13], -v[199:200]
	v_mul_f64 v[199:200], v[180:181], s[22:23]
	v_add_f64 v[197:198], v[197:198], v[205:206]
	v_fma_f64 v[203:204], v[190:191], s[24:25], -v[199:200]
	v_fma_f64 v[199:200], v[190:191], s[24:25], v[199:200]
	v_mul_f64 v[205:206], v[182:183], s[22:23]
	v_add_f64 v[203:204], v[203:204], v[217:218]
	v_add_f64 v[199:200], v[199:200], v[215:216]
	v_mul_f64 v[215:216], v[180:181], s[36:37]
	v_fma_f64 v[207:208], v[195:196], s[24:25], v[205:206]
	v_fma_f64 v[205:206], v[195:196], s[24:25], -v[205:206]
	v_fma_f64 v[217:218], v[190:191], s[28:29], -v[215:216]
	v_fma_f64 v[215:216], v[190:191], s[28:29], v[215:216]
	v_add_f64 v[205:206], v[205:206], v[219:220]
	v_mul_f64 v[219:220], v[182:183], s[36:37]
	v_add_f64 v[207:208], v[207:208], v[221:222]
	v_add_f64 v[217:218], v[217:218], v[225:226]
	;; [unrolled: 1-line block ×3, first 2 shown]
	v_mul_f64 v[223:224], v[180:181], s[18:19]
	v_fma_f64 v[221:222], v[195:196], s[28:29], v[219:220]
	v_fma_f64 v[219:220], v[195:196], s[28:29], -v[219:220]
	v_mul_f64 v[180:181], v[180:181], s[30:31]
	v_fma_f64 v[225:226], v[190:191], s[6:7], -v[223:224]
	v_fma_f64 v[223:224], v[190:191], s[6:7], v[223:224]
	v_add_f64 v[219:220], v[219:220], v[227:228]
	v_mul_f64 v[227:228], v[182:183], s[18:19]
	v_mul_f64 v[182:183], v[182:183], s[30:31]
	v_add_f64 v[221:222], v[221:222], v[229:230]
	v_add_f64 v[225:226], v[225:226], v[233:234]
	;; [unrolled: 1-line block ×3, first 2 shown]
	v_fma_f64 v[231:232], v[190:191], s[16:17], -v[180:181]
	v_fma_f64 v[180:181], v[190:191], s[16:17], v[180:181]
	v_fma_f64 v[233:234], v[195:196], s[16:17], v[182:183]
	;; [unrolled: 1-line block ×3, first 2 shown]
	v_fma_f64 v[227:228], v[195:196], s[6:7], -v[227:228]
	v_add_f64 v[231:232], v[231:232], v[239:240]
	v_add_f64 v[152:153], v[180:181], v[152:153]
	v_fma_f64 v[180:181], v[195:196], s[16:17], -v[182:183]
	v_add_f64 v[182:183], v[172:173], v[176:177]
	v_add_f64 v[172:173], v[172:173], -v[176:177]
	v_add_f64 v[227:228], v[227:228], v[235:236]
	v_add_f64 v[229:230], v[229:230], v[237:238]
	;; [unrolled: 1-line block ×5, first 2 shown]
	v_add_f64 v[178:179], v[178:179], -v[184:185]
	v_mul_f64 v[176:177], v[172:173], s[4:5]
	v_mul_f64 v[190:191], v[178:179], s[4:5]
	v_fma_f64 v[184:185], v[180:181], s[6:7], -v[176:177]
	v_fma_f64 v[176:177], v[180:181], s[6:7], v[176:177]
	v_add_f64 v[184:185], v[184:185], v[193:194]
	v_fma_f64 v[193:194], v[182:183], s[6:7], v[190:191]
	v_add_f64 v[176:177], v[176:177], v[186:187]
	v_fma_f64 v[186:187], v[182:183], s[6:7], -v[190:191]
	v_mul_f64 v[190:191], v[172:173], s[36:37]
	v_add_f64 v[193:194], v[193:194], v[201:202]
	v_add_f64 v[186:187], v[186:187], v[197:198]
	v_fma_f64 v[195:196], v[180:181], s[28:29], -v[190:191]
	v_fma_f64 v[190:191], v[180:181], s[28:29], v[190:191]
	v_mul_f64 v[197:198], v[178:179], s[36:37]
	v_add_f64 v[195:196], v[195:196], v[203:204]
	v_add_f64 v[190:191], v[190:191], v[199:200]
	v_mul_f64 v[199:200], v[172:173], s[34:35]
	v_fma_f64 v[201:202], v[182:183], s[28:29], v[197:198]
	v_fma_f64 v[197:198], v[182:183], s[28:29], -v[197:198]
	v_fma_f64 v[203:204], v[180:181], s[12:13], -v[199:200]
	v_fma_f64 v[199:200], v[180:181], s[12:13], v[199:200]
	v_add_f64 v[197:198], v[197:198], v[205:206]
	v_mul_f64 v[205:206], v[178:179], s[34:35]
	v_add_f64 v[201:202], v[201:202], v[207:208]
	v_add_f64 v[203:204], v[203:204], v[217:218]
	;; [unrolled: 1-line block ×3, first 2 shown]
	v_mul_f64 v[215:216], v[172:173], s[20:21]
	v_fma_f64 v[207:208], v[182:183], s[12:13], v[205:206]
	v_fma_f64 v[205:206], v[182:183], s[12:13], -v[205:206]
	v_mul_f64 v[172:173], v[172:173], s[22:23]
	v_fma_f64 v[217:218], v[180:181], s[16:17], -v[215:216]
	v_fma_f64 v[215:216], v[180:181], s[16:17], v[215:216]
	v_add_f64 v[205:206], v[205:206], v[219:220]
	v_mul_f64 v[219:220], v[178:179], s[20:21]
	v_mul_f64 v[178:179], v[178:179], s[22:23]
	v_add_f64 v[207:208], v[207:208], v[221:222]
	v_add_f64 v[217:218], v[217:218], v[225:226]
	;; [unrolled: 1-line block ×3, first 2 shown]
	v_fma_f64 v[223:224], v[180:181], s[24:25], -v[172:173]
	v_fma_f64 v[172:173], v[180:181], s[24:25], v[172:173]
	v_add_f64 v[180:181], v[160:161], v[166:167]
	v_add_f64 v[160:161], v[160:161], -v[166:167]
	v_fma_f64 v[221:222], v[182:183], s[16:17], v[219:220]
	v_fma_f64 v[219:220], v[182:183], s[16:17], -v[219:220]
	v_fma_f64 v[225:226], v[182:183], s[24:25], v[178:179]
	v_add_f64 v[223:224], v[223:224], v[231:232]
	v_add_f64 v[152:153], v[172:173], v[152:153]
	v_fma_f64 v[172:173], v[182:183], s[24:25], -v[178:179]
	v_mul_f64 v[166:167], v[160:161], s[22:23]
	v_add_f64 v[221:222], v[221:222], v[229:230]
	v_add_f64 v[219:220], v[219:220], v[227:228]
	;; [unrolled: 1-line block ×5, first 2 shown]
	v_add_f64 v[170:171], v[170:171], -v[174:175]
	v_fma_f64 v[174:175], v[172:173], s[24:25], -v[166:167]
	v_fma_f64 v[166:167], v[172:173], s[24:25], v[166:167]
	v_add_f64 v[227:228], v[174:175], v[184:185]
	v_mul_f64 v[174:175], v[170:171], s[22:23]
	v_add_f64 v[166:167], v[166:167], v[176:177]
	v_fma_f64 v[178:179], v[180:181], s[24:25], v[174:175]
	v_fma_f64 v[174:175], v[180:181], s[24:25], -v[174:175]
	v_add_f64 v[193:194], v[178:179], v[193:194]
	v_add_f64 v[229:230], v[174:175], v[186:187]
	v_mul_f64 v[174:175], v[160:161], s[18:19]
	v_fma_f64 v[176:177], v[172:173], s[6:7], -v[174:175]
	v_fma_f64 v[174:175], v[172:173], s[6:7], v[174:175]
	v_add_f64 v[195:196], v[176:177], v[195:196]
	v_mul_f64 v[176:177], v[170:171], s[18:19]
	v_add_f64 v[190:191], v[174:175], v[190:191]
	v_fma_f64 v[174:175], v[180:181], s[6:7], -v[176:177]
	v_fma_f64 v[178:179], v[180:181], s[6:7], v[176:177]
	v_add_f64 v[197:198], v[174:175], v[197:198]
	v_mul_f64 v[174:175], v[160:161], s[20:21]
	v_add_f64 v[201:202], v[178:179], v[201:202]
	;; [unrolled: 5-line block ×3, first 2 shown]
	v_fma_f64 v[174:175], v[180:181], s[16:17], -v[176:177]
	v_fma_f64 v[178:179], v[180:181], s[16:17], v[176:177]
	v_add_f64 v[205:206], v[174:175], v[205:206]
	v_mul_f64 v[174:175], v[160:161], s[26:27]
	v_mul_f64 v[160:161], v[160:161], s[34:35]
	v_add_f64 v[207:208], v[178:179], v[207:208]
	v_fma_f64 v[176:177], v[172:173], s[28:29], -v[174:175]
	v_fma_f64 v[174:175], v[172:173], s[28:29], v[174:175]
	v_add_f64 v[217:218], v[176:177], v[217:218]
	v_mul_f64 v[176:177], v[170:171], s[26:27]
	v_add_f64 v[186:187], v[174:175], v[215:216]
	v_mul_f64 v[170:171], v[170:171], s[34:35]
	v_add_f64 v[215:216], v[156:157], -v[158:159]
	v_fma_f64 v[174:175], v[180:181], s[28:29], -v[176:177]
	v_fma_f64 v[178:179], v[180:181], s[28:29], v[176:177]
	v_add_f64 v[176:177], v[162:163], v[164:165]
	v_add_f64 v[184:185], v[174:175], v[219:220]
	v_fma_f64 v[174:175], v[172:173], s[12:13], -v[160:161]
	v_fma_f64 v[160:161], v[172:173], s[12:13], v[160:161]
	v_add_f64 v[221:222], v[178:179], v[221:222]
	v_add_f64 v[172:173], v[156:157], v[158:159]
	v_mul_f64 v[156:157], v[215:216], s[26:27]
	v_add_f64 v[182:183], v[174:175], v[223:224]
	v_fma_f64 v[174:175], v[180:181], s[12:13], v[170:171]
	v_add_f64 v[178:179], v[174:175], v[225:226]
	v_add_f64 v[174:175], v[160:161], v[152:153]
	v_fma_f64 v[152:153], v[180:181], s[12:13], -v[170:171]
	v_add_f64 v[180:181], v[162:163], -v[164:165]
	v_mul_f64 v[164:165], v[215:216], s[30:31]
	v_add_f64 v[170:171], v[152:153], v[154:155]
	v_fma_f64 v[152:153], v[176:177], s[28:29], -v[156:157]
	v_fma_f64 v[156:157], v[176:177], s[28:29], v[156:157]
	v_mul_f64 v[158:159], v[180:181], s[26:27]
	v_fma_f64 v[160:161], v[176:177], s[16:17], -v[164:165]
	v_fma_f64 v[164:165], v[176:177], s[16:17], v[164:165]
	v_add_f64 v[152:153], v[152:153], v[227:228]
	v_add_f64 v[156:157], v[156:157], v[166:167]
	v_mul_f64 v[166:167], v[180:181], s[30:31]
	v_fma_f64 v[154:155], v[172:173], s[28:29], v[158:159]
	v_add_f64 v[164:165], v[164:165], v[190:191]
	v_mul_f64 v[190:191], v[215:216], s[22:23]
	v_add_f64 v[160:161], v[160:161], v[195:196]
	v_fma_f64 v[158:159], v[172:173], s[28:29], -v[158:159]
	v_fma_f64 v[162:163], v[172:173], s[16:17], v[166:167]
	v_add_f64 v[154:155], v[154:155], v[193:194]
	v_fma_f64 v[166:167], v[172:173], s[16:17], -v[166:167]
	v_fma_f64 v[193:194], v[176:177], s[24:25], -v[190:191]
	v_fma_f64 v[190:191], v[176:177], s[24:25], v[190:191]
	v_add_f64 v[158:159], v[158:159], v[229:230]
	v_add_f64 v[162:163], v[162:163], v[201:202]
	v_mul_f64 v[201:202], v[180:181], s[22:23]
	v_add_f64 v[166:167], v[166:167], v[197:198]
	v_add_f64 v[193:194], v[193:194], v[203:204]
	;; [unrolled: 1-line block ×3, first 2 shown]
	v_fma_f64 v[190:191], v[172:173], s[24:25], -v[201:202]
	v_fma_f64 v[195:196], v[172:173], s[24:25], v[201:202]
	v_add_f64 v[199:200], v[190:191], v[205:206]
	v_mul_f64 v[190:191], v[215:216], s[34:35]
	v_add_f64 v[195:196], v[195:196], v[207:208]
	v_mul_f64 v[207:208], v[180:181], s[34:35]
	v_mul_f64 v[180:181], v[180:181], s[4:5]
	v_fma_f64 v[201:202], v[176:177], s[12:13], -v[190:191]
	v_fma_f64 v[190:191], v[176:177], s[12:13], v[190:191]
	v_fma_f64 v[203:204], v[172:173], s[12:13], v[207:208]
	v_add_f64 v[201:202], v[201:202], v[217:218]
	v_add_f64 v[205:206], v[190:191], v[186:187]
	v_fma_f64 v[186:187], v[172:173], s[12:13], -v[207:208]
	v_add_f64 v[203:204], v[203:204], v[221:222]
	v_add_f64 v[207:208], v[186:187], v[184:185]
	v_mul_f64 v[186:187], v[215:216], s[4:5]
	v_fma_f64 v[184:185], v[176:177], s[6:7], -v[186:187]
	v_fma_f64 v[176:177], v[176:177], s[6:7], v[186:187]
	v_add_f64 v[182:183], v[184:185], v[182:183]
	v_fma_f64 v[184:185], v[172:173], s[6:7], v[180:181]
	v_fma_f64 v[172:173], v[172:173], s[6:7], -v[180:181]
	v_add_f64 v[174:175], v[176:177], v[174:175]
	v_add_f64 v[184:185], v[184:185], v[178:179]
	;; [unrolled: 1-line block ×3, first 2 shown]
	ds_write_b128 v209, v[148:151]
	ds_write_b128 v209, v[152:155] offset:880
	ds_write_b128 v209, v[160:163] offset:1760
	;; [unrolled: 1-line block ×10, first 2 shown]
	s_waitcnt lgkmcnt(0)
	s_barrier
	buffer_gl0_inv
	global_load_dwordx4 v[152:155], v[168:169], off offset:1488
	ds_read_b128 v[148:151], v209
	v_add_co_u32 v160, s0, 0x25d0, v188
	v_add_co_ci_u32_e64 v161, s0, 0, v189, s0
	s_waitcnt vmcnt(0) lgkmcnt(0)
	v_mul_f64 v[156:157], v[150:151], v[154:155]
	v_fma_f64 v[156:157], v[148:149], v[152:153], -v[156:157]
	v_mul_f64 v[148:149], v[148:149], v[154:155]
	v_fma_f64 v[158:159], v[150:151], v[152:153], v[148:149]
	global_load_dwordx4 v[152:155], v[160:161], off offset:880
	ds_read_b128 v[148:151], v209 offset:880
	ds_write_b128 v209, v[156:159]
	s_waitcnt vmcnt(0) lgkmcnt(1)
	v_mul_f64 v[156:157], v[150:151], v[154:155]
	v_fma_f64 v[156:157], v[148:149], v[152:153], -v[156:157]
	v_mul_f64 v[148:149], v[148:149], v[154:155]
	v_fma_f64 v[158:159], v[150:151], v[152:153], v[148:149]
	global_load_dwordx4 v[152:155], v[160:161], off offset:1760
	ds_read_b128 v[148:151], v209 offset:1760
	v_add_co_u32 v160, s0, 0x3000, v188
	v_add_co_ci_u32_e64 v161, s0, 0, v189, s0
	ds_write_b128 v209, v[156:159] offset:880
	s_waitcnt vmcnt(0) lgkmcnt(1)
	v_mul_f64 v[156:157], v[150:151], v[154:155]
	v_fma_f64 v[156:157], v[148:149], v[152:153], -v[156:157]
	v_mul_f64 v[148:149], v[148:149], v[154:155]
	v_fma_f64 v[158:159], v[150:151], v[152:153], v[148:149]
	global_load_dwordx4 v[152:155], v[160:161], off offset:32
	ds_read_b128 v[148:151], v209 offset:2640
	ds_write_b128 v209, v[156:159] offset:1760
	s_waitcnt vmcnt(0) lgkmcnt(1)
	v_mul_f64 v[156:157], v[150:151], v[154:155]
	v_fma_f64 v[156:157], v[148:149], v[152:153], -v[156:157]
	v_mul_f64 v[148:149], v[148:149], v[154:155]
	v_fma_f64 v[158:159], v[150:151], v[152:153], v[148:149]
	global_load_dwordx4 v[152:155], v[160:161], off offset:912
	ds_read_b128 v[148:151], v209 offset:3520
	;; [unrolled: 8-line block ×3, first 2 shown]
	v_add_co_u32 v160, s0, 0x3800, v188
	v_add_co_ci_u32_e64 v161, s0, 0, v189, s0
	ds_write_b128 v209, v[156:159] offset:3520
	s_waitcnt vmcnt(0) lgkmcnt(1)
	v_mul_f64 v[156:157], v[150:151], v[154:155]
	v_fma_f64 v[156:157], v[148:149], v[152:153], -v[156:157]
	v_mul_f64 v[148:149], v[148:149], v[154:155]
	v_fma_f64 v[158:159], v[150:151], v[152:153], v[148:149]
	global_load_dwordx4 v[152:155], v[160:161], off offset:624
	ds_read_b128 v[148:151], v209 offset:5280
	ds_write_b128 v209, v[156:159] offset:4400
	s_waitcnt vmcnt(0) lgkmcnt(1)
	v_mul_f64 v[156:157], v[150:151], v[154:155]
	v_fma_f64 v[156:157], v[148:149], v[152:153], -v[156:157]
	v_mul_f64 v[148:149], v[148:149], v[154:155]
	v_fma_f64 v[158:159], v[150:151], v[152:153], v[148:149]
	global_load_dwordx4 v[152:155], v[160:161], off offset:1504
	ds_read_b128 v[148:151], v209 offset:6160
	v_add_co_u32 v160, s0, 0x4000, v188
	v_add_co_ci_u32_e64 v161, s0, 0, v189, s0
	ds_write_b128 v209, v[156:159] offset:5280
	s_waitcnt vmcnt(0) lgkmcnt(1)
	v_mul_f64 v[156:157], v[150:151], v[154:155]
	v_fma_f64 v[156:157], v[148:149], v[152:153], -v[156:157]
	v_mul_f64 v[148:149], v[148:149], v[154:155]
	v_fma_f64 v[158:159], v[150:151], v[152:153], v[148:149]
	global_load_dwordx4 v[152:155], v[160:161], off offset:336
	ds_read_b128 v[148:151], v209 offset:7040
	ds_write_b128 v209, v[156:159] offset:6160
	s_waitcnt vmcnt(0) lgkmcnt(1)
	v_mul_f64 v[156:157], v[150:151], v[154:155]
	v_fma_f64 v[156:157], v[148:149], v[152:153], -v[156:157]
	v_mul_f64 v[148:149], v[148:149], v[154:155]
	v_fma_f64 v[158:159], v[150:151], v[152:153], v[148:149]
	global_load_dwordx4 v[152:155], v[160:161], off offset:1216
	ds_read_b128 v[148:151], v209 offset:7920
	ds_write_b128 v209, v[156:159] offset:7040
	s_waitcnt vmcnt(0) lgkmcnt(1)
	v_mul_f64 v[156:157], v[150:151], v[154:155]
	v_fma_f64 v[156:157], v[148:149], v[152:153], -v[156:157]
	v_mul_f64 v[148:149], v[148:149], v[154:155]
	v_fma_f64 v[158:159], v[150:151], v[152:153], v[148:149]
	v_add_co_u32 v152, s0, 0x4800, v188
	v_add_co_ci_u32_e64 v153, s0, 0, v189, s0
	ds_read_b128 v[148:151], v209 offset:8800
	s_mov_b32 s0, s22
	global_load_dwordx4 v[152:155], v[152:153], off offset:48
	ds_write_b128 v209, v[156:159] offset:7920
	s_waitcnt vmcnt(0) lgkmcnt(1)
	v_mul_f64 v[156:157], v[150:151], v[154:155]
	v_fma_f64 v[156:157], v[148:149], v[152:153], -v[156:157]
	v_mul_f64 v[148:149], v[148:149], v[154:155]
	v_fma_f64 v[158:159], v[150:151], v[152:153], v[148:149]
	ds_write_b128 v209, v[156:159] offset:8800
	s_waitcnt lgkmcnt(0)
	s_barrier
	buffer_gl0_inv
	ds_read_b128 v[160:163], v209
	ds_read_b128 v[164:167], v209 offset:880
	ds_read_b128 v[168:171], v209 offset:1760
	;; [unrolled: 1-line block ×10, first 2 shown]
	s_waitcnt lgkmcnt(0)
	s_barrier
	buffer_gl0_inv
	v_add_f64 v[148:149], v[160:161], v[164:165]
	v_add_f64 v[150:151], v[162:163], v[166:167]
	;; [unrolled: 1-line block ×3, first 2 shown]
	v_add_f64 v[166:167], v[166:167], -v[195:196]
	v_add_f64 v[197:198], v[164:165], v[193:194]
	v_add_f64 v[164:165], v[164:165], -v[193:194]
	v_add_f64 v[148:149], v[148:149], v[168:169]
	v_add_f64 v[150:151], v[150:151], v[170:171]
	v_mul_f64 v[201:202], v[199:200], s[16:17]
	v_mul_f64 v[205:206], v[166:167], s[14:15]
	;; [unrolled: 1-line block ×8, first 2 shown]
	v_add_f64 v[148:149], v[148:149], v[172:173]
	v_add_f64 v[150:151], v[150:151], v[174:175]
	v_fma_f64 v[203:204], v[164:165], s[30:31], v[201:202]
	v_fma_f64 v[207:208], v[197:198], s[12:13], v[205:206]
	v_fma_f64 v[205:206], v[197:198], s[12:13], -v[205:206]
	v_fma_f64 v[221:222], v[197:198], s[6:7], v[219:220]
	v_fma_f64 v[219:220], v[197:198], s[6:7], -v[219:220]
	;; [unrolled: 2-line block ×3, first 2 shown]
	v_fma_f64 v[201:202], v[164:165], s[20:21], v[201:202]
	v_fma_f64 v[217:218], v[164:165], s[34:35], v[215:216]
	;; [unrolled: 1-line block ×6, first 2 shown]
	v_add_f64 v[148:149], v[148:149], v[176:177]
	v_add_f64 v[150:151], v[150:151], v[178:179]
	v_fma_f64 v[231:232], v[164:165], s[22:23], v[231:232]
	v_fma_f64 v[237:238], v[164:165], s[36:37], v[199:200]
	;; [unrolled: 1-line block ×3, first 2 shown]
	v_add_f64 v[203:204], v[162:163], v[203:204]
	v_add_f64 v[207:208], v[160:161], v[207:208]
	;; [unrolled: 1-line block ×19, first 2 shown]
	v_add_f64 v[168:169], v[168:169], -v[188:189]
	v_add_f64 v[148:149], v[148:149], v[156:157]
	v_add_f64 v[150:151], v[150:151], v[158:159]
	;; [unrolled: 1-line block ×9, first 2 shown]
	v_mul_f64 v[193:194], v[166:167], s[20:21]
	v_mul_f64 v[166:167], v[166:167], s[26:27]
	v_add_f64 v[150:151], v[150:151], v[195:196]
	v_fma_f64 v[195:196], v[197:198], s[16:17], v[193:194]
	v_fma_f64 v[193:194], v[197:198], s[16:17], -v[193:194]
	v_fma_f64 v[235:236], v[197:198], s[28:29], v[166:167]
	v_fma_f64 v[166:167], v[197:198], s[28:29], -v[166:167]
	v_add_f64 v[195:196], v[160:161], v[195:196]
	v_add_f64 v[193:194], v[160:161], v[193:194]
	;; [unrolled: 1-line block ×5, first 2 shown]
	v_add_f64 v[170:171], v[170:171], -v[190:191]
	v_mul_f64 v[188:189], v[170:171], s[14:15]
	v_fma_f64 v[190:191], v[164:165], s[12:13], v[188:189]
	v_fma_f64 v[188:189], v[164:165], s[12:13], -v[188:189]
	v_add_f64 v[190:191], v[190:191], v[195:196]
	v_mul_f64 v[195:196], v[166:167], s[12:13]
	v_add_f64 v[188:189], v[188:189], v[193:194]
	v_fma_f64 v[197:198], v[168:169], s[34:35], v[195:196]
	v_fma_f64 v[193:194], v[168:169], s[14:15], v[195:196]
	v_mul_f64 v[195:196], v[170:171], s[22:23]
	v_add_f64 v[197:198], v[197:198], v[203:204]
	v_add_f64 v[193:194], v[193:194], v[201:202]
	v_fma_f64 v[199:200], v[164:165], s[24:25], v[195:196]
	v_fma_f64 v[195:196], v[164:165], s[24:25], -v[195:196]
	v_mul_f64 v[201:202], v[166:167], s[24:25]
	v_add_f64 v[199:200], v[199:200], v[207:208]
	v_add_f64 v[195:196], v[195:196], v[205:206]
	v_mul_f64 v[205:206], v[170:171], s[36:37]
	v_fma_f64 v[203:204], v[168:169], s[0:1], v[201:202]
	v_fma_f64 v[201:202], v[168:169], s[22:23], v[201:202]
	;; [unrolled: 1-line block ×3, first 2 shown]
	v_fma_f64 v[205:206], v[164:165], s[28:29], -v[205:206]
	v_add_f64 v[201:202], v[201:202], v[215:216]
	v_mul_f64 v[215:216], v[166:167], s[28:29]
	v_add_f64 v[203:204], v[203:204], v[217:218]
	v_add_f64 v[207:208], v[207:208], v[221:222]
	;; [unrolled: 1-line block ×3, first 2 shown]
	v_mul_f64 v[219:220], v[170:171], s[18:19]
	v_fma_f64 v[217:218], v[168:169], s[26:27], v[215:216]
	v_fma_f64 v[215:216], v[168:169], s[36:37], v[215:216]
	v_mul_f64 v[170:171], v[170:171], s[30:31]
	v_fma_f64 v[221:222], v[164:165], s[6:7], v[219:220]
	v_fma_f64 v[219:220], v[164:165], s[6:7], -v[219:220]
	v_add_f64 v[215:216], v[215:216], v[223:224]
	v_mul_f64 v[223:224], v[166:167], s[6:7]
	v_mul_f64 v[166:167], v[166:167], s[16:17]
	v_add_f64 v[217:218], v[217:218], v[225:226]
	v_add_f64 v[221:222], v[221:222], v[229:230]
	;; [unrolled: 1-line block ×3, first 2 shown]
	v_fma_f64 v[227:228], v[164:165], s[16:17], v[170:171]
	v_fma_f64 v[164:165], v[164:165], s[16:17], -v[170:171]
	v_fma_f64 v[229:230], v[168:169], s[20:21], v[166:167]
	v_fma_f64 v[225:226], v[168:169], s[4:5], v[223:224]
	;; [unrolled: 1-line block ×3, first 2 shown]
	v_add_f64 v[170:171], v[174:175], -v[186:187]
	v_add_f64 v[227:228], v[227:228], v[235:236]
	v_add_f64 v[160:161], v[164:165], v[160:161]
	v_fma_f64 v[164:165], v[168:169], s[30:31], v[166:167]
	v_add_f64 v[166:167], v[174:175], v[186:187]
	v_add_f64 v[168:169], v[172:173], -v[184:185]
	v_add_f64 v[223:224], v[223:224], v[231:232]
	v_add_f64 v[229:230], v[229:230], v[237:238]
	;; [unrolled: 1-line block ×3, first 2 shown]
	v_add_f64 v[178:179], v[178:179], -v[182:183]
	v_add_f64 v[225:226], v[225:226], v[233:234]
	v_add_f64 v[235:236], v[176:177], v[180:181]
	v_add_f64 v[176:177], v[176:177], -v[180:181]
	v_add_f64 v[162:163], v[164:165], v[162:163]
	v_add_f64 v[164:165], v[172:173], v[184:185]
	v_mul_f64 v[184:185], v[166:167], s[6:7]
	v_mul_f64 v[172:173], v[170:171], s[4:5]
	;; [unrolled: 1-line block ×3, first 2 shown]
	v_fma_f64 v[186:187], v[168:169], s[18:19], v[184:185]
	v_fma_f64 v[184:185], v[168:169], s[4:5], v[184:185]
	;; [unrolled: 1-line block ×3, first 2 shown]
	v_fma_f64 v[172:173], v[164:165], s[6:7], -v[172:173]
	v_fma_f64 v[182:183], v[235:236], s[28:29], v[180:181]
	v_fma_f64 v[180:181], v[235:236], s[28:29], -v[180:181]
	v_add_f64 v[186:187], v[186:187], v[197:198]
	v_add_f64 v[184:185], v[184:185], v[193:194]
	v_mul_f64 v[193:194], v[166:167], s[28:29]
	v_add_f64 v[172:173], v[172:173], v[188:189]
	v_mul_f64 v[188:189], v[170:171], s[36:37]
	v_add_f64 v[174:175], v[174:175], v[190:191]
	v_fma_f64 v[197:198], v[168:169], s[26:27], v[193:194]
	v_fma_f64 v[193:194], v[168:169], s[36:37], v[193:194]
	;; [unrolled: 1-line block ×3, first 2 shown]
	v_fma_f64 v[188:189], v[164:165], s[28:29], -v[188:189]
	v_add_f64 v[203:204], v[197:198], v[203:204]
	v_add_f64 v[201:202], v[193:194], v[201:202]
	v_mul_f64 v[193:194], v[170:171], s[34:35]
	v_add_f64 v[188:189], v[188:189], v[195:196]
	v_add_f64 v[190:191], v[190:191], v[199:200]
	v_fma_f64 v[195:196], v[164:165], s[12:13], v[193:194]
	v_fma_f64 v[193:194], v[164:165], s[12:13], -v[193:194]
	v_add_f64 v[207:208], v[195:196], v[207:208]
	v_mul_f64 v[195:196], v[166:167], s[12:13]
	v_add_f64 v[205:206], v[193:194], v[205:206]
	v_fma_f64 v[193:194], v[168:169], s[34:35], v[195:196]
	v_fma_f64 v[197:198], v[168:169], s[14:15], v[195:196]
	v_add_f64 v[215:216], v[193:194], v[215:216]
	v_mul_f64 v[193:194], v[170:171], s[20:21]
	v_mul_f64 v[170:171], v[170:171], s[22:23]
	v_add_f64 v[217:218], v[197:198], v[217:218]
	v_fma_f64 v[195:196], v[164:165], s[16:17], v[193:194]
	v_fma_f64 v[193:194], v[164:165], s[16:17], -v[193:194]
	v_add_f64 v[221:222], v[195:196], v[221:222]
	v_mul_f64 v[195:196], v[166:167], s[16:17]
	v_add_f64 v[219:220], v[193:194], v[219:220]
	v_mul_f64 v[166:167], v[166:167], s[24:25]
	v_fma_f64 v[193:194], v[168:169], s[20:21], v[195:196]
	v_fma_f64 v[197:198], v[168:169], s[30:31], v[195:196]
	v_add_f64 v[223:224], v[193:194], v[223:224]
	v_fma_f64 v[193:194], v[164:165], s[24:25], v[170:171]
	v_fma_f64 v[164:165], v[164:165], s[24:25], -v[170:171]
	v_add_f64 v[225:226], v[197:198], v[225:226]
	v_add_f64 v[227:228], v[193:194], v[227:228]
	;; [unrolled: 1-line block ×3, first 2 shown]
	v_fma_f64 v[160:161], v[168:169], s[22:23], v[166:167]
	v_fma_f64 v[193:194], v[168:169], s[0:1], v[166:167]
	v_add_f64 v[233:234], v[160:161], v[162:163]
	v_mul_f64 v[160:161], v[178:179], s[22:23]
	v_add_f64 v[229:230], v[193:194], v[229:230]
	v_fma_f64 v[162:163], v[235:236], s[24:25], v[160:161]
	v_fma_f64 v[160:161], v[235:236], s[24:25], -v[160:161]
	v_add_f64 v[199:200], v[162:163], v[174:175]
	v_mul_f64 v[162:163], v[237:238], s[24:25]
	v_add_f64 v[195:196], v[160:161], v[172:173]
	v_mul_f64 v[172:173], v[178:179], s[20:21]
	v_mul_f64 v[174:175], v[237:238], s[16:17]
	v_fma_f64 v[160:161], v[176:177], s[22:23], v[162:163]
	v_fma_f64 v[164:165], v[176:177], s[0:1], v[162:163]
	v_fma_f64 v[168:169], v[235:236], s[16:17], v[172:173]
	v_fma_f64 v[170:171], v[176:177], s[30:31], v[174:175]
	v_fma_f64 v[172:173], v[235:236], s[16:17], -v[172:173]
	v_fma_f64 v[174:175], v[176:177], s[20:21], v[174:175]
	v_add_f64 v[197:198], v[160:161], v[184:185]
	v_mul_f64 v[160:161], v[178:179], s[18:19]
	v_add_f64 v[193:194], v[164:165], v[186:187]
	v_add_f64 v[186:187], v[180:181], v[219:220]
	v_mul_f64 v[178:179], v[178:179], s[34:35]
	v_add_f64 v[168:169], v[168:169], v[207:208]
	v_add_f64 v[207:208], v[154:155], -v[158:159]
	v_add_f64 v[172:173], v[172:173], v[205:206]
	v_add_f64 v[205:206], v[154:155], v[158:159]
	;; [unrolled: 1-line block ×4, first 2 shown]
	v_fma_f64 v[162:163], v[235:236], s[6:7], v[160:161]
	v_fma_f64 v[160:161], v[235:236], s[6:7], -v[160:161]
	v_add_f64 v[164:165], v[162:163], v[190:191]
	v_mul_f64 v[162:163], v[237:238], s[6:7]
	v_add_f64 v[160:161], v[160:161], v[188:189]
	v_add_f64 v[188:189], v[182:183], v[221:222]
	v_mul_f64 v[182:183], v[237:238], s[28:29]
	v_fma_f64 v[166:167], v[176:177], s[4:5], v[162:163]
	v_fma_f64 v[162:163], v[176:177], s[18:19], v[162:163]
	;; [unrolled: 1-line block ×4, first 2 shown]
	v_add_f64 v[166:167], v[166:167], v[203:204]
	v_add_f64 v[162:163], v[162:163], v[201:202]
	v_mul_f64 v[201:202], v[237:238], s[12:13]
	v_add_f64 v[190:191], v[184:185], v[225:226]
	v_add_f64 v[184:185], v[180:181], v[223:224]
	v_fma_f64 v[180:181], v[235:236], s[12:13], v[178:179]
	v_add_f64 v[203:204], v[152:153], v[156:157]
	v_fma_f64 v[178:179], v[235:236], s[12:13], -v[178:179]
	v_add_f64 v[182:183], v[180:181], v[227:228]
	v_fma_f64 v[180:181], v[176:177], s[14:15], v[201:202]
	v_fma_f64 v[176:177], v[176:177], s[34:35], v[201:202]
	v_add_f64 v[201:202], v[152:153], -v[156:157]
	v_mul_f64 v[152:153], v[207:208], s[26:27]
	v_add_f64 v[178:179], v[178:179], v[231:232]
	v_add_f64 v[180:181], v[180:181], v[229:230]
	;; [unrolled: 1-line block ×3, first 2 shown]
	v_fma_f64 v[154:155], v[203:204], s[28:29], v[152:153]
	v_fma_f64 v[152:153], v[203:204], s[28:29], -v[152:153]
	v_add_f64 v[156:157], v[154:155], v[199:200]
	v_mul_f64 v[154:155], v[205:206], s[28:29]
	v_add_f64 v[152:153], v[152:153], v[195:196]
	v_fma_f64 v[158:159], v[201:202], s[36:37], v[154:155]
	v_fma_f64 v[154:155], v[201:202], s[26:27], v[154:155]
	v_add_f64 v[158:159], v[158:159], v[193:194]
	v_mul_f64 v[193:194], v[207:208], s[30:31]
	v_add_f64 v[154:155], v[154:155], v[197:198]
	v_fma_f64 v[195:196], v[203:204], s[16:17], v[193:194]
	v_fma_f64 v[193:194], v[203:204], s[16:17], -v[193:194]
	v_add_f64 v[164:165], v[195:196], v[164:165]
	v_mul_f64 v[195:196], v[205:206], s[16:17]
	v_add_f64 v[160:161], v[193:194], v[160:161]
	v_fma_f64 v[193:194], v[201:202], s[30:31], v[195:196]
	v_fma_f64 v[197:198], v[201:202], s[20:21], v[195:196]
	v_add_f64 v[162:163], v[193:194], v[162:163]
	v_mul_f64 v[193:194], v[207:208], s[22:23]
	v_add_f64 v[166:167], v[197:198], v[166:167]
	;; [unrolled: 10-line block ×4, first 2 shown]
	v_mul_f64 v[197:198], v[205:206], s[6:7]
	v_fma_f64 v[184:185], v[203:204], s[6:7], v[186:187]
	v_add_f64 v[182:183], v[184:185], v[182:183]
	v_fma_f64 v[184:185], v[201:202], s[18:19], v[197:198]
	v_add_f64 v[184:185], v[184:185], v[180:181]
	v_fma_f64 v[180:181], v[203:204], s[6:7], -v[186:187]
	v_add_f64 v[178:179], v[180:181], v[178:179]
	v_fma_f64 v[180:181], v[201:202], s[4:5], v[197:198]
	v_add_f64 v[180:181], v[180:181], v[176:177]
	ds_write_b128 v212, v[148:151]
	ds_write_b128 v212, v[156:159] offset:16
	ds_write_b128 v212, v[164:167] offset:32
	;; [unrolled: 1-line block ×10, first 2 shown]
	s_waitcnt lgkmcnt(0)
	s_barrier
	buffer_gl0_inv
	ds_read_b128 v[156:159], v209
	ds_read_b128 v[188:191], v209 offset:1936
	ds_read_b128 v[184:187], v209 offset:3872
	ds_read_b128 v[176:179], v209 offset:5808
	ds_read_b128 v[180:183], v209 offset:7744
	ds_read_b128 v[148:151], v209 offset:880
	ds_read_b128 v[160:163], v209 offset:2816
	ds_read_b128 v[164:167], v209 offset:4752
	ds_read_b128 v[168:171], v209 offset:6688
	ds_read_b128 v[172:175], v209 offset:8624
	s_and_saveexec_b32 s0, vcc_lo
	s_cbranch_execz .LBB0_7
; %bb.6:
	ds_read_b128 v[152:155], v209 offset:1760
	ds_read_b128 v[92:95], v209 offset:3696
	;; [unrolled: 1-line block ×5, first 2 shown]
.LBB0_7:
	s_or_b32 exec_lo, exec_lo, s0
	s_waitcnt lgkmcnt(8)
	v_mul_f64 v[193:194], v[62:63], v[190:191]
	v_mul_f64 v[62:63], v[62:63], v[188:189]
	s_waitcnt lgkmcnt(7)
	v_mul_f64 v[195:196], v[66:67], v[186:187]
	v_mul_f64 v[66:67], v[66:67], v[184:185]
	s_waitcnt lgkmcnt(6)
	v_mul_f64 v[197:198], v[70:71], v[178:179]
	s_waitcnt lgkmcnt(5)
	v_mul_f64 v[199:200], v[74:75], v[180:181]
	v_mul_f64 v[74:75], v[74:75], v[182:183]
	;; [unrolled: 1-line block ×3, first 2 shown]
	s_waitcnt lgkmcnt(3)
	v_mul_f64 v[201:202], v[78:79], v[162:163]
	s_waitcnt lgkmcnt(2)
	v_mul_f64 v[203:204], v[82:83], v[166:167]
	;; [unrolled: 2-line block ×3, first 2 shown]
	v_mul_f64 v[82:83], v[82:83], v[164:165]
	s_waitcnt lgkmcnt(0)
	v_mul_f64 v[207:208], v[90:91], v[174:175]
	v_mul_f64 v[86:87], v[86:87], v[168:169]
	;; [unrolled: 1-line block ×4, first 2 shown]
	s_mov_b32 s4, 0x134454ff
	s_mov_b32 s5, 0xbfee6f0e
	;; [unrolled: 1-line block ×6, first 2 shown]
	v_fma_f64 v[188:189], v[60:61], v[188:189], v[193:194]
	v_fma_f64 v[60:61], v[60:61], v[190:191], -v[62:63]
	v_fma_f64 v[62:63], v[64:65], v[184:185], v[195:196]
	v_fma_f64 v[64:65], v[64:65], v[186:187], -v[66:67]
	;; [unrolled: 2-line block ×4, first 2 shown]
	v_fma_f64 v[160:161], v[76:77], v[160:161], v[201:202]
	v_fma_f64 v[70:71], v[80:81], v[164:165], v[203:204]
	;; [unrolled: 1-line block ×3, first 2 shown]
	v_fma_f64 v[80:81], v[80:81], v[166:167], -v[82:83]
	v_fma_f64 v[164:165], v[88:89], v[172:173], v[207:208]
	v_fma_f64 v[82:83], v[84:85], v[170:171], -v[86:87]
	v_fma_f64 v[76:77], v[76:77], v[162:163], -v[78:79]
	;; [unrolled: 1-line block ×3, first 2 shown]
	s_mov_b32 s7, 0x3fe2cf23
	s_mov_b32 s6, s0
	;; [unrolled: 1-line block ×4, first 2 shown]
	s_barrier
	v_add_f64 v[78:79], v[156:157], v[188:189]
	v_add_f64 v[180:181], v[158:159], v[60:61]
	v_add_f64 v[166:167], v[188:189], -v[62:63]
	v_add_f64 v[172:173], v[62:63], -v[188:189]
	v_add_f64 v[84:85], v[62:63], v[66:67]
	v_add_f64 v[174:175], v[60:61], v[176:177]
	;; [unrolled: 1-line block ×4, first 2 shown]
	v_add_f64 v[88:89], v[60:61], -v[176:177]
	v_add_f64 v[162:163], v[64:65], -v[68:69]
	v_add_f64 v[184:185], v[70:71], v[74:75]
	v_add_f64 v[182:183], v[188:189], -v[72:73]
	v_add_f64 v[190:191], v[160:161], v[164:165]
	v_add_f64 v[195:196], v[80:81], v[82:83]
	v_add_f64 v[170:171], v[72:73], -v[66:67]
	v_add_f64 v[199:200], v[76:77], v[86:87]
	v_add_f64 v[186:187], v[62:63], -v[66:67]
	v_add_f64 v[201:202], v[148:149], v[160:161]
	v_add_f64 v[217:218], v[150:151], v[76:77]
	v_add_f64 v[178:179], v[66:67], -v[72:73]
	v_add_f64 v[203:204], v[76:77], -v[86:87]
	;; [unrolled: 1-line block ×5, first 2 shown]
	v_add_f64 v[62:63], v[78:79], v[62:63]
	v_add_f64 v[219:220], v[70:71], -v[74:75]
	v_fma_f64 v[84:85], v[84:85], -0.5, v[156:157]
	v_add_f64 v[188:189], v[60:61], -v[64:65]
	v_fma_f64 v[90:91], v[90:91], -0.5, v[156:157]
	v_fma_f64 v[168:169], v[168:169], -0.5, v[158:159]
	;; [unrolled: 1-line block ×3, first 2 shown]
	v_add_f64 v[156:157], v[80:81], -v[82:83]
	v_fma_f64 v[184:185], v[184:185], -0.5, v[148:149]
	v_add_f64 v[60:61], v[64:65], -v[60:61]
	v_fma_f64 v[148:149], v[190:191], -0.5, v[148:149]
	v_fma_f64 v[190:191], v[195:196], -0.5, v[150:151]
	v_add_f64 v[64:65], v[180:181], v[64:65]
	v_fma_f64 v[150:151], v[199:200], -0.5, v[150:151]
	v_add_f64 v[193:194], v[176:177], -v[68:69]
	v_add_f64 v[197:198], v[68:69], -v[176:177]
	v_add_f64 v[166:167], v[166:167], v[170:171]
	v_add_f64 v[221:222], v[76:77], -v[80:81]
	v_add_f64 v[76:77], v[80:81], -v[76:77]
	v_add_f64 v[70:71], v[201:202], v[70:71]
	v_add_f64 v[80:81], v[217:218], v[80:81]
	v_add_f64 v[207:208], v[164:165], -v[74:75]
	v_add_f64 v[78:79], v[86:87], -v[82:83]
	v_add_f64 v[172:173], v[172:173], v[178:179]
	v_fma_f64 v[199:200], v[88:89], s[4:5], v[84:85]
	v_fma_f64 v[84:85], v[88:89], s[12:13], v[84:85]
	;; [unrolled: 1-line block ×11, first 2 shown]
	v_add_f64 v[62:63], v[62:63], v[66:67]
	v_fma_f64 v[66:67], v[156:157], s[4:5], v[148:149]
	v_fma_f64 v[148:149], v[160:161], s[12:13], v[190:191]
	v_add_f64 v[174:175], v[74:75], -v[164:165]
	v_add_f64 v[195:196], v[82:83], -v[86:87]
	v_fma_f64 v[217:218], v[219:220], s[4:5], v[150:151]
	v_fma_f64 v[150:151], v[219:220], s[12:13], v[150:151]
	;; [unrolled: 1-line block ×3, first 2 shown]
	v_add_f64 v[188:189], v[188:189], v[193:194]
	v_add_f64 v[82:83], v[80:81], v[82:83]
	v_add_f64 v[193:194], v[205:206], v[207:208]
	v_fma_f64 v[199:200], v[162:163], s[0:1], v[199:200]
	v_fma_f64 v[84:85], v[162:163], s[6:7], v[84:85]
	;; [unrolled: 1-line block ×4, first 2 shown]
	v_add_f64 v[90:91], v[64:65], v[68:69]
	v_fma_f64 v[180:181], v[186:187], s[6:7], v[180:181]
	v_fma_f64 v[168:169], v[186:187], s[0:1], v[168:169]
	;; [unrolled: 1-line block ×3, first 2 shown]
	v_add_f64 v[186:187], v[60:61], v[197:198]
	v_fma_f64 v[158:159], v[182:183], s[0:1], v[158:159]
	v_add_f64 v[182:183], v[70:71], v[74:75]
	v_fma_f64 v[178:179], v[156:157], s[0:1], v[178:179]
	v_fma_f64 v[156:157], v[156:157], s[6:7], v[184:185]
	;; [unrolled: 1-line block ×5, first 2 shown]
	v_add_f64 v[203:204], v[221:222], v[78:79]
	v_add_f64 v[174:175], v[215:216], v[174:175]
	v_fma_f64 v[205:206], v[160:161], s[6:7], v[217:218]
	v_add_f64 v[195:196], v[76:77], v[195:196]
	v_fma_f64 v[160:161], v[160:161], s[0:1], v[150:151]
	v_fma_f64 v[190:191], v[219:220], s[0:1], v[190:191]
	v_add_f64 v[60:61], v[62:63], v[72:73]
	v_fma_f64 v[64:65], v[166:167], s[14:15], v[199:200]
	v_fma_f64 v[72:73], v[172:173], s[14:15], v[162:163]
	;; [unrolled: 1-line block ×3, first 2 shown]
	v_add_f64 v[62:63], v[90:91], v[176:177]
	v_fma_f64 v[66:67], v[188:189], s[14:15], v[180:181]
	v_fma_f64 v[68:69], v[166:167], s[14:15], v[84:85]
	;; [unrolled: 1-line block ×5, first 2 shown]
	v_add_f64 v[80:81], v[182:183], v[164:165]
	v_add_f64 v[82:83], v[82:83], v[86:87]
	v_fma_f64 v[84:85], v[193:194], s[14:15], v[178:179]
	v_fma_f64 v[88:89], v[193:194], s[14:15], v[156:157]
	buffer_gl0_inv
	v_fma_f64 v[86:87], v[203:204], s[14:15], v[201:202]
	v_fma_f64 v[148:149], v[174:175], s[14:15], v[184:185]
	;; [unrolled: 1-line block ×6, first 2 shown]
	ds_write_b128 v213, v[60:63]
	ds_write_b128 v213, v[64:67] offset:176
	ds_write_b128 v213, v[72:75] offset:352
	;; [unrolled: 1-line block ×4, first 2 shown]
	ds_write_b128 v214, v[80:83]
	ds_write_b128 v214, v[84:87] offset:176
	ds_write_b128 v214, v[148:151] offset:352
	ds_write_b128 v214, v[156:159] offset:528
	ds_write_b128 v214, v[88:91] offset:704
	s_and_saveexec_b32 s16, vcc_lo
	s_cbranch_execz .LBB0_9
; %bb.8:
	v_mul_f64 v[60:61], v[50:51], v[100:101]
	v_mul_f64 v[62:63], v[46:47], v[92:93]
	v_mul_f64 v[64:65], v[58:59], v[96:97]
	v_mul_f64 v[66:67], v[54:55], v[104:105]
	v_mul_f64 v[50:51], v[50:51], v[102:103]
	v_mul_f64 v[54:55], v[54:55], v[106:107]
	v_mul_f64 v[46:47], v[46:47], v[94:95]
	v_mul_f64 v[58:59], v[58:59], v[98:99]
	v_fma_f64 v[60:61], v[48:49], v[102:103], -v[60:61]
	v_fma_f64 v[62:63], v[44:45], v[94:95], -v[62:63]
	;; [unrolled: 1-line block ×4, first 2 shown]
	v_fma_f64 v[48:49], v[48:49], v[100:101], v[50:51]
	v_fma_f64 v[50:51], v[52:53], v[104:105], v[54:55]
	;; [unrolled: 1-line block ×4, first 2 shown]
	v_add_f64 v[72:73], v[154:155], v[62:63]
	v_add_f64 v[46:47], v[62:63], v[64:65]
	;; [unrolled: 1-line block ×3, first 2 shown]
	v_add_f64 v[76:77], v[62:63], -v[64:65]
	v_add_f64 v[56:57], v[48:49], v[50:51]
	v_add_f64 v[74:75], v[152:153], v[44:45]
	;; [unrolled: 1-line block ×3, first 2 shown]
	v_add_f64 v[68:69], v[48:49], -v[50:51]
	v_add_f64 v[70:71], v[44:45], -v[52:53]
	;; [unrolled: 1-line block ×11, first 2 shown]
	v_add_f64 v[60:61], v[72:73], v[60:61]
	v_fma_f64 v[46:47], v[46:47], -0.5, v[154:155]
	v_fma_f64 v[54:55], v[54:55], -0.5, v[154:155]
	;; [unrolled: 1-line block ×3, first 2 shown]
	v_add_f64 v[48:49], v[74:75], v[48:49]
	v_fma_f64 v[58:59], v[58:59], -0.5, v[152:153]
	v_add_f64 v[62:63], v[62:63], v[84:85]
	v_add_f64 v[84:85], v[44:45], v[90:91]
	v_add_f64 v[80:81], v[80:81], v[82:83]
	v_add_f64 v[82:83], v[86:87], v[88:89]
	v_add_f64 v[44:45], v[60:61], v[66:67]
	v_fma_f64 v[72:73], v[68:69], s[12:13], v[46:47]
	v_fma_f64 v[46:47], v[68:69], s[4:5], v[46:47]
	;; [unrolled: 1-line block ×8, first 2 shown]
	v_add_f64 v[48:49], v[48:49], v[50:51]
	v_fma_f64 v[50:51], v[70:71], s[0:1], v[72:73]
	v_fma_f64 v[60:61], v[70:71], s[6:7], v[46:47]
	;; [unrolled: 1-line block ×8, first 2 shown]
	v_add_f64 v[46:47], v[44:45], v[64:65]
	v_add_f64 v[44:45], v[48:49], v[52:53]
	v_mov_b32_e32 v64, 4
	v_lshlrev_b32_sdwa v64, v64, v211 dst_sel:DWORD dst_unused:UNUSED_PAD src0_sel:DWORD src1_sel:BYTE_0
	v_fma_f64 v[50:51], v[80:81], s[14:15], v[50:51]
	v_fma_f64 v[54:55], v[80:81], s[14:15], v[60:61]
	;; [unrolled: 1-line block ×8, first 2 shown]
	ds_write_b128 v64, v[44:47] offset:8800
	ds_write_b128 v64, v[60:63] offset:8976
	;; [unrolled: 1-line block ×5, first 2 shown]
.LBB0_9:
	s_or_b32 exec_lo, exec_lo, s16
	s_waitcnt lgkmcnt(0)
	s_barrier
	buffer_gl0_inv
	ds_read_b128 v[48:51], v209 offset:880
	ds_read_b128 v[44:47], v209
	ds_read_b128 v[52:55], v209 offset:1760
	ds_read_b128 v[56:59], v209 offset:2640
	;; [unrolled: 1-line block ×9, first 2 shown]
	s_mov_b32 s4, 0xf8bb580b
	s_mov_b32 s6, 0x8764f0ba
	;; [unrolled: 1-line block ×9, first 2 shown]
	s_waitcnt lgkmcnt(10)
	v_mul_f64 v[88:89], v[134:135], v[50:51]
	v_mul_f64 v[90:91], v[134:135], v[48:49]
	s_waitcnt lgkmcnt(8)
	v_mul_f64 v[94:95], v[118:119], v[54:55]
	v_mul_f64 v[96:97], v[118:119], v[52:53]
	s_waitcnt lgkmcnt(7)
	v_mul_f64 v[102:103], v[114:115], v[58:59]
	v_mul_f64 v[104:105], v[114:115], v[56:57]
	s_waitcnt lgkmcnt(6)
	v_mul_f64 v[118:119], v[110:111], v[62:63]
	v_mul_f64 v[110:111], v[110:111], v[60:61]
	s_waitcnt lgkmcnt(2)
	v_mul_f64 v[114:115], v[130:131], v[76:77]
	v_mul_f64 v[106:107], v[130:131], v[78:79]
	s_waitcnt lgkmcnt(0)
	v_mul_f64 v[92:93], v[142:143], v[84:85]
	v_mul_f64 v[100:101], v[146:147], v[80:81]
	v_mul_f64 v[98:99], v[146:147], v[82:83]
	v_mul_f64 v[130:131], v[126:127], v[74:75]
	v_mul_f64 v[126:127], v[126:127], v[72:73]
	s_mov_b32 s20, 0x640f44db
	s_mov_b32 s19, 0xbfefac9e
	s_mov_b32 s21, 0xbfc2375f
	s_mov_b32 s26, 0x7f775887
	s_mov_b32 s28, 0xfd768dbf
	s_mov_b32 s34, 0x9bcd5057
	s_mov_b32 s1, 0x3fe14ced
	v_fma_f64 v[88:89], v[132:133], v[48:49], v[88:89]
	v_fma_f64 v[90:91], v[132:133], v[50:51], -v[90:91]
	v_mul_f64 v[50:51], v[142:143], v[86:87]
	v_fma_f64 v[52:53], v[116:117], v[52:53], v[94:95]
	v_fma_f64 v[54:55], v[116:117], v[54:55], -v[96:97]
	v_mul_f64 v[96:97], v[138:139], v[64:65]
	v_fma_f64 v[58:59], v[112:113], v[58:59], -v[104:105]
	v_fma_f64 v[56:57], v[112:113], v[56:57], v[102:103]
	v_fma_f64 v[78:79], v[128:129], v[78:79], -v[114:115]
	v_fma_f64 v[76:77], v[128:129], v[76:77], v[106:107]
	v_fma_f64 v[48:49], v[140:141], v[86:87], -v[92:93]
	v_mul_f64 v[86:87], v[138:139], v[66:67]
	v_fma_f64 v[62:63], v[108:109], v[62:63], -v[110:111]
	v_fma_f64 v[82:83], v[144:145], v[82:83], -v[100:101]
	v_fma_f64 v[60:61], v[108:109], v[60:61], v[118:119]
	v_mul_f64 v[116:117], v[122:123], v[70:71]
	v_mul_f64 v[122:123], v[122:123], v[68:69]
	v_fma_f64 v[80:81], v[144:145], v[80:81], v[98:99]
	s_mov_b32 s15, 0x3fed1bb4
	s_mov_b32 s27, 0xbfe4f49e
	;; [unrolled: 1-line block ×4, first 2 shown]
	v_add_f64 v[92:93], v[44:45], v[88:89]
	v_add_f64 v[94:95], v[46:47], v[90:91]
	v_fma_f64 v[50:51], v[140:141], v[84:85], v[50:51]
	s_mov_b32 s0, s4
	s_mov_b32 s14, s12
	v_fma_f64 v[66:67], v[136:137], v[66:67], -v[96:97]
	v_fma_f64 v[74:75], v[124:125], v[74:75], -v[126:127]
	v_fma_f64 v[72:73], v[124:125], v[72:73], v[130:131]
	v_add_f64 v[102:103], v[58:59], v[78:79]
	v_add_f64 v[106:107], v[58:59], -v[78:79]
	v_add_f64 v[100:101], v[56:57], v[76:77]
	v_fma_f64 v[64:65], v[136:137], v[64:65], v[86:87]
	v_add_f64 v[104:105], v[56:57], -v[76:77]
	v_add_f64 v[84:85], v[90:91], -v[48:49]
	v_add_f64 v[90:91], v[90:91], v[48:49]
	v_fma_f64 v[68:69], v[120:121], v[68:69], v[116:117]
	v_fma_f64 v[70:71], v[120:121], v[70:71], -v[122:123]
	v_add_f64 v[98:99], v[54:55], -v[82:83]
	v_add_f64 v[96:97], v[52:53], v[80:81]
	s_mov_b32 s25, 0x3fefac9e
	s_mov_b32 s24, s18
	;; [unrolled: 1-line block ×3, first 2 shown]
	v_add_f64 v[86:87], v[92:93], v[52:53]
	v_add_f64 v[92:93], v[94:95], v[54:55]
	;; [unrolled: 1-line block ×3, first 2 shown]
	v_add_f64 v[88:89], v[88:89], -v[50:51]
	v_add_f64 v[54:55], v[54:55], v[82:83]
	v_add_f64 v[52:53], v[52:53], -v[80:81]
	s_mov_b32 s31, 0x3fe82f19
	s_mov_b32 s30, s22
	v_add_f64 v[110:111], v[62:63], v[74:75]
	v_add_f64 v[112:113], v[62:63], -v[74:75]
	v_mul_f64 v[142:143], v[106:107], s[18:19]
	v_mul_f64 v[144:145], v[102:103], s[20:21]
	;; [unrolled: 1-line block ×12, first 2 shown]
	v_add_f64 v[56:57], v[86:87], v[56:57]
	v_add_f64 v[58:59], v[92:93], v[58:59]
	v_mul_f64 v[86:87], v[84:85], s[18:19]
	v_mul_f64 v[92:93], v[90:91], s[20:21]
	;; [unrolled: 1-line block ×11, first 2 shown]
	v_fma_f64 v[156:157], v[94:95], s[6:7], v[114:115]
	v_fma_f64 v[158:159], v[88:89], s[0:1], v[116:117]
	v_fma_f64 v[114:115], v[94:95], s[6:7], -v[114:115]
	v_fma_f64 v[116:117], v[88:89], s[4:5], v[116:117]
	v_fma_f64 v[160:161], v[94:95], s[16:17], v[118:119]
	;; [unrolled: 1-line block ×5, first 2 shown]
	v_fma_f64 v[118:119], v[94:95], s[16:17], -v[118:119]
	v_add_f64 v[56:57], v[56:57], v[60:61]
	v_add_f64 v[58:59], v[58:59], v[62:63]
	v_fma_f64 v[164:165], v[94:95], s[20:21], v[86:87]
	v_fma_f64 v[166:167], v[88:89], s[24:25], v[92:93]
	v_fma_f64 v[86:87], v[94:95], s[20:21], -v[86:87]
	v_fma_f64 v[92:93], v[88:89], s[18:19], v[92:93]
	v_fma_f64 v[170:171], v[88:89], s[30:31], v[124:125]
	v_fma_f64 v[122:123], v[94:95], s[26:27], -v[122:123]
	v_fma_f64 v[124:125], v[88:89], s[22:23], v[124:125]
	v_fma_f64 v[172:173], v[94:95], s[34:35], v[84:85]
	;; [unrolled: 1-line block ×3, first 2 shown]
	v_fma_f64 v[84:85], v[94:95], s[34:35], -v[84:85]
	v_fma_f64 v[88:89], v[88:89], s[28:29], v[90:91]
	v_fma_f64 v[90:91], v[96:97], s[16:17], v[126:127]
	;; [unrolled: 1-line block ×4, first 2 shown]
	v_add_f64 v[156:157], v[44:45], v[156:157]
	v_add_f64 v[158:159], v[46:47], v[158:159]
	v_mul_f64 v[62:63], v[106:107], s[14:15]
	v_mul_f64 v[150:151], v[102:103], s[16:17]
	v_fma_f64 v[180:181], v[96:97], s[34:35], v[134:135]
	v_fma_f64 v[182:183], v[52:53], s[28:29], v[136:137]
	v_add_f64 v[56:57], v[56:57], v[64:65]
	v_add_f64 v[58:59], v[58:59], v[66:67]
	v_fma_f64 v[134:135], v[96:97], s[34:35], -v[134:135]
	v_fma_f64 v[136:137], v[52:53], s[36:37], v[136:137]
	v_add_f64 v[86:87], v[44:45], v[86:87]
	v_add_f64 v[92:93], v[46:47], v[92:93]
	v_mul_f64 v[152:153], v[106:107], s[4:5]
	v_fma_f64 v[126:127], v[96:97], s[16:17], -v[126:127]
	v_fma_f64 v[128:129], v[52:53], s[12:13], v[128:129]
	v_fma_f64 v[132:133], v[52:53], s[22:23], v[132:133]
	;; [unrolled: 1-line block ×3, first 2 shown]
	v_add_f64 v[120:121], v[46:47], v[120:121]
	v_mul_f64 v[146:147], v[106:107], s[36:37]
	v_mul_f64 v[154:155], v[102:103], s[6:7]
	v_fma_f64 v[176:177], v[96:97], s[26:27], v[130:131]
	v_fma_f64 v[130:131], v[96:97], s[26:27], -v[130:131]
	v_fma_f64 v[186:187], v[52:53], s[18:19], v[140:141]
	v_fma_f64 v[138:139], v[96:97], s[20:21], -v[138:139]
	v_fma_f64 v[140:141], v[52:53], s[24:25], v[140:141]
	v_fma_f64 v[188:189], v[96:97], s[6:7], v[98:99]
	;; [unrolled: 1-line block ×3, first 2 shown]
	v_fma_f64 v[96:97], v[96:97], s[6:7], -v[98:99]
	v_add_f64 v[56:57], v[56:57], v[68:69]
	v_add_f64 v[58:59], v[58:59], v[70:71]
	v_fma_f64 v[52:53], v[52:53], s[0:1], v[54:55]
	v_fma_f64 v[54:55], v[100:101], s[20:21], v[142:143]
	;; [unrolled: 1-line block ×4, first 2 shown]
	v_add_f64 v[118:119], v[44:45], v[118:119]
	v_add_f64 v[122:123], v[44:45], v[122:123]
	v_add_f64 v[124:125], v[46:47], v[124:125]
	v_mul_f64 v[106:107], v[106:107], s[22:23]
	v_fma_f64 v[197:198], v[100:101], s[16:17], v[62:63]
	v_fma_f64 v[199:200], v[104:105], s[12:13], v[150:151]
	v_fma_f64 v[62:63], v[100:101], s[16:17], -v[62:63]
	v_fma_f64 v[150:151], v[104:105], s[14:15], v[150:151]
	v_add_f64 v[86:87], v[134:135], v[86:87]
	v_add_f64 v[92:93], v[136:137], v[92:93]
	;; [unrolled: 1-line block ×3, first 2 shown]
	v_mul_f64 v[102:103], v[102:103], s[26:27]
	v_fma_f64 v[142:143], v[100:101], s[20:21], -v[142:143]
	v_add_f64 v[60:61], v[60:61], -v[72:73]
	v_fma_f64 v[144:145], v[104:105], s[18:19], v[144:145]
	v_fma_f64 v[193:194], v[100:101], s[34:35], v[146:147]
	v_add_f64 v[56:57], v[56:57], v[72:73]
	v_add_f64 v[58:59], v[58:59], v[74:75]
	;; [unrolled: 1-line block ×16, first 2 shown]
	v_mul_f64 v[72:73], v[112:113], s[22:23]
	v_fma_f64 v[146:147], v[100:101], s[34:35], -v[146:147]
	v_add_f64 v[94:95], v[130:131], v[118:119]
	v_fma_f64 v[148:149], v[104:105], s[36:37], v[148:149]
	v_add_f64 v[122:123], v[138:139], v[122:123]
	v_add_f64 v[124:125], v[140:141], v[124:125]
	;; [unrolled: 1-line block ×9, first 2 shown]
	v_fma_f64 v[132:133], v[104:105], s[4:5], v[154:155]
	v_add_f64 v[120:121], v[184:185], v[166:167]
	v_add_f64 v[126:127], v[186:187], v[168:169]
	;; [unrolled: 1-line block ×8, first 2 shown]
	v_fma_f64 v[84:85], v[104:105], s[0:1], v[154:155]
	v_mul_f64 v[96:97], v[110:111], s[20:21]
	v_fma_f64 v[98:99], v[100:101], s[6:7], -v[152:153]
	v_fma_f64 v[92:93], v[100:101], s[26:27], -v[106:107]
	v_add_f64 v[116:117], v[180:181], v[162:163]
	v_fma_f64 v[134:135], v[100:101], s[26:27], v[106:107]
	v_add_f64 v[56:57], v[56:57], v[80:81]
	v_add_f64 v[58:59], v[58:59], v[82:83]
	v_fma_f64 v[82:83], v[100:101], s[6:7], v[152:153]
	v_mul_f64 v[80:81], v[110:111], s[26:27]
	v_mul_f64 v[106:107], v[112:113], s[4:5]
	v_add_f64 v[88:89], v[195:196], v[90:91]
	v_mul_f64 v[90:91], v[112:113], s[24:25]
	v_add_f64 v[118:119], v[182:183], v[164:165]
	v_add_f64 v[74:75], v[142:143], v[74:75]
	v_fma_f64 v[136:137], v[104:105], s[30:31], v[102:103]
	v_fma_f64 v[100:101], v[104:105], s[22:23], v[102:103]
	;; [unrolled: 1-line block ×3, first 2 shown]
	v_fma_f64 v[72:73], v[108:109], s[26:27], -v[72:73]
	v_add_f64 v[76:77], v[144:145], v[76:77]
	v_add_f64 v[78:79], v[193:194], v[78:79]
	;; [unrolled: 1-line block ×4, first 2 shown]
	v_fma_f64 v[138:139], v[60:61], s[18:19], v[96:97]
	v_add_f64 v[114:115], v[148:149], v[114:115]
	v_add_f64 v[98:99], v[98:99], v[122:123]
	v_fma_f64 v[96:97], v[60:61], s[24:25], v[96:97]
	v_add_f64 v[122:123], v[132:133], v[124:125]
	v_mul_f64 v[124:125], v[112:113], s[28:29]
	v_mul_f64 v[132:133], v[110:111], s[34:35]
	v_add_f64 v[82:83], v[82:83], v[120:121]
	v_mul_f64 v[120:121], v[110:111], s[6:7]
	v_fma_f64 v[104:105], v[60:61], s[30:31], v[80:81]
	v_fma_f64 v[80:81], v[60:61], s[22:23], v[80:81]
	;; [unrolled: 1-line block ×3, first 2 shown]
	v_fma_f64 v[90:91], v[108:109], s[20:21], -v[90:91]
	v_mul_f64 v[112:113], v[112:113], s[14:15]
	v_mul_f64 v[110:111], v[110:111], s[16:17]
	v_add_f64 v[44:45], v[92:93], v[44:45]
	v_add_f64 v[92:93], v[66:67], -v[70:71]
	v_add_f64 v[66:67], v[66:67], v[70:71]
	v_add_f64 v[128:129], v[188:189], v[170:171]
	;; [unrolled: 1-line block ×4, first 2 shown]
	v_fma_f64 v[70:71], v[108:109], s[6:7], v[106:107]
	v_add_f64 v[118:119], v[199:200], v[118:119]
	v_add_f64 v[72:73], v[72:73], v[74:75]
	;; [unrolled: 1-line block ×4, first 2 shown]
	v_fma_f64 v[102:103], v[60:61], s[36:37], v[132:133]
	v_fma_f64 v[74:75], v[60:61], s[0:1], v[120:121]
	v_add_f64 v[54:55], v[104:105], v[54:55]
	v_add_f64 v[100:101], v[80:81], v[76:77]
	v_fma_f64 v[80:81], v[108:109], s[6:7], -v[106:107]
	v_add_f64 v[76:77], v[126:127], v[78:79]
	v_add_f64 v[78:79], v[138:139], v[88:89]
	;; [unrolled: 1-line block ×3, first 2 shown]
	v_fma_f64 v[94:95], v[60:61], s[4:5], v[120:121]
	v_add_f64 v[90:91], v[96:97], v[114:115]
	v_fma_f64 v[96:97], v[108:109], s[34:35], v[124:125]
	v_fma_f64 v[104:105], v[108:109], s[34:35], -v[124:125]
	v_fma_f64 v[106:107], v[60:61], s[28:29], v[132:133]
	v_fma_f64 v[114:115], v[108:109], s[16:17], v[112:113]
	;; [unrolled: 1-line block ×3, first 2 shown]
	v_fma_f64 v[108:109], v[108:109], s[16:17], -v[112:113]
	v_fma_f64 v[60:61], v[60:61], s[14:15], v[110:111]
	v_add_f64 v[110:111], v[64:65], v[68:69]
	v_add_f64 v[64:65], v[64:65], -v[68:69]
	v_mul_f64 v[68:69], v[92:93], s[28:29]
	v_mul_f64 v[112:113], v[66:67], s[34:35]
	v_add_f64 v[128:129], v[134:135], v[128:129]
	v_add_f64 v[130:131], v[136:137], v[130:131]
	;; [unrolled: 1-line block ×3, first 2 shown]
	v_mul_f64 v[116:117], v[92:93], s[0:1]
	v_mul_f64 v[124:125], v[66:67], s[6:7]
	v_add_f64 v[74:75], v[74:75], v[118:119]
	v_mul_f64 v[118:119], v[92:93], s[22:23]
	v_mul_f64 v[126:127], v[66:67], s[26:27]
	v_add_f64 v[62:63], v[80:81], v[62:63]
	;; [unrolled: 3-line block ×4, first 2 shown]
	v_add_f64 v[92:93], v[104:105], v[98:99]
	v_add_f64 v[96:97], v[106:107], v[122:123]
	;; [unrolled: 1-line block ×5, first 2 shown]
	v_fma_f64 v[60:61], v[110:111], s[34:35], v[68:69]
	v_fma_f64 v[108:109], v[64:65], s[36:37], v[112:113]
	v_add_f64 v[98:99], v[114:115], v[128:129]
	v_add_f64 v[102:103], v[120:121], v[130:131]
	v_fma_f64 v[68:69], v[110:111], s[34:35], -v[68:69]
	v_fma_f64 v[114:115], v[110:111], s[6:7], v[116:117]
	v_fma_f64 v[120:121], v[64:65], s[4:5], v[124:125]
	v_fma_f64 v[116:117], v[110:111], s[6:7], -v[116:117]
	v_fma_f64 v[122:123], v[110:111], s[26:27], v[118:119]
	v_fma_f64 v[128:129], v[64:65], s[30:31], v[126:127]
	;; [unrolled: 3-line block ×5, first 2 shown]
	v_fma_f64 v[126:127], v[64:65], s[22:23], v[126:127]
	v_fma_f64 v[124:125], v[64:65], s[0:1], v[124:125]
	;; [unrolled: 1-line block ×3, first 2 shown]
	v_add_f64 v[44:45], v[56:57], v[50:51]
	v_add_f64 v[46:47], v[58:59], v[48:49]
	v_add_f64 v[48:49], v[60:61], v[52:53]
	v_add_f64 v[50:51], v[108:109], v[54:55]
	v_add_f64 v[52:53], v[68:69], v[72:73]
	v_add_f64 v[56:57], v[114:115], v[76:77]
	v_add_f64 v[58:59], v[120:121], v[78:79]
	v_add_f64 v[60:61], v[116:117], v[88:89]
	v_add_f64 v[64:65], v[122:123], v[70:71]
	v_add_f64 v[66:67], v[128:129], v[74:75]
	v_add_f64 v[68:69], v[118:119], v[62:63]
	v_add_f64 v[72:73], v[130:131], v[82:83]
	v_add_f64 v[74:75], v[134:135], v[84:85]
	v_add_f64 v[76:77], v[80:81], v[92:93]
	v_add_f64 v[80:81], v[136:137], v[98:99]
	v_add_f64 v[82:83], v[138:139], v[102:103]
	v_add_f64 v[84:85], v[86:87], v[104:105]
	v_add_f64 v[86:87], v[110:111], v[106:107]
	v_add_f64 v[78:79], v[132:133], v[96:97]
	v_add_f64 v[70:71], v[126:127], v[94:95]
	v_add_f64 v[62:63], v[124:125], v[90:91]
	v_add_f64 v[54:55], v[112:113], v[100:101]
	ds_write_b128 v209, v[44:47]
	ds_write_b128 v209, v[48:51] offset:880
	ds_write_b128 v209, v[56:59] offset:1760
	;; [unrolled: 1-line block ×10, first 2 shown]
	s_waitcnt lgkmcnt(0)
	s_barrier
	buffer_gl0_inv
	ds_read_b128 v[44:47], v209
	ds_read_b128 v[48:51], v209 offset:880
	v_mad_u64_u32 v[56:57], null, s10, v192, 0
	v_mad_u64_u32 v[58:59], null, s8, v210, 0
	s_mov_b32 s0, 0xdfd760e6
	s_mov_b32 s1, 0x3f5b14bb
	s_waitcnt lgkmcnt(1)
	v_mul_f64 v[52:53], v[10:11], v[46:47]
	v_mul_f64 v[10:11], v[10:11], v[44:45]
	s_waitcnt lgkmcnt(0)
	v_mul_f64 v[60:61], v[6:7], v[50:51]
	v_mul_f64 v[6:7], v[6:7], v[48:49]
	v_fma_f64 v[44:45], v[8:9], v[44:45], v[52:53]
	v_fma_f64 v[46:47], v[8:9], v[46:47], -v[10:11]
	ds_read_b128 v[8:11], v209 offset:1760
	v_mov_b32_e32 v52, v57
	v_fma_f64 v[50:51], v[4:5], v[50:51], -v[6:7]
	v_fma_f64 v[48:49], v[4:5], v[48:49], v[60:61]
	v_mad_u64_u32 v[52:53], null, s11, v192, v[52:53]
	v_mov_b32_e32 v53, v59
	v_mad_u64_u32 v[62:63], null, s9, v210, v[53:54]
	v_mov_b32_e32 v57, v52
	ds_read_b128 v[52:55], v209 offset:2640
	s_waitcnt lgkmcnt(1)
	v_mul_f64 v[63:64], v[2:3], v[10:11]
	v_mul_f64 v[65:66], v[2:3], v[8:9]
	v_lshlrev_b64 v[2:3], 4, v[56:57]
	v_mul_f64 v[44:45], v[44:45], s[0:1]
	v_mul_f64 v[46:47], v[46:47], s[0:1]
	v_mov_b32_e32 v59, v62
	v_add_co_u32 v6, vcc_lo, s2, v2
	v_add_co_ci_u32_e32 v7, vcc_lo, s3, v3, vcc_lo
	ds_read_b128 v[2:5], v209 offset:3520
	v_lshlrev_b64 v[56:57], 4, v[58:59]
	s_mul_i32 s2, s9, 0x370
	s_mul_hi_u32 s3, s8, 0x370
	s_add_i32 s3, s3, s2
	s_mul_i32 s2, s8, 0x370
	v_add_co_u32 v67, vcc_lo, v6, v56
	v_add_co_ci_u32_e32 v68, vcc_lo, v7, v57, vcc_lo
	v_fma_f64 v[69:70], v[0:1], v[8:9], v[63:64]
	v_fma_f64 v[0:1], v[0:1], v[10:11], -v[65:66]
	s_waitcnt lgkmcnt(1)
	v_mul_f64 v[10:11], v[26:27], v[54:55]
	v_mul_f64 v[26:27], v[26:27], v[52:53]
	global_store_dwordx4 v[67:68], v[44:47], off
	ds_read_b128 v[44:47], v209 offset:4400
	v_mul_f64 v[6:7], v[48:49], s[0:1]
	v_mul_f64 v[8:9], v[50:51], s[0:1]
	ds_read_b128 v[48:51], v209 offset:5280
	s_waitcnt lgkmcnt(2)
	v_mul_f64 v[76:77], v[34:35], v[4:5]
	v_mul_f64 v[34:35], v[34:35], v[2:3]
	ds_read_b128 v[56:59], v209 offset:6160
	ds_read_b128 v[60:63], v209 offset:7040
	v_add_co_u32 v78, vcc_lo, v67, s2
	ds_read_b128 v[64:67], v209 offset:7920
	ds_read_b128 v[72:75], v209 offset:8800
	v_add_co_ci_u32_e32 v79, vcc_lo, s3, v68, vcc_lo
	v_mul_f64 v[68:69], v[69:70], s[0:1]
	v_mul_f64 v[70:71], v[0:1], s[0:1]
	v_fma_f64 v[0:1], v[24:25], v[52:53], v[10:11]
	v_fma_f64 v[10:11], v[24:25], v[54:55], -v[26:27]
	s_waitcnt lgkmcnt(5)
	v_mul_f64 v[24:25], v[18:19], v[46:47]
	v_mul_f64 v[18:19], v[18:19], v[44:45]
	s_waitcnt lgkmcnt(4)
	v_mul_f64 v[52:53], v[14:15], v[50:51]
	v_mul_f64 v[14:15], v[14:15], v[48:49]
	v_add_co_u32 v26, vcc_lo, v78, s2
	v_fma_f64 v[54:55], v[32:33], v[2:3], v[76:77]
	v_fma_f64 v[32:33], v[32:33], v[4:5], -v[34:35]
	s_waitcnt lgkmcnt(3)
	v_mul_f64 v[34:35], v[22:23], v[58:59]
	v_mul_f64 v[22:23], v[22:23], v[56:57]
	s_waitcnt lgkmcnt(2)
	v_mul_f64 v[76:77], v[30:31], v[62:63]
	v_mul_f64 v[30:31], v[30:31], v[60:61]
	;; [unrolled: 3-line block ×4, first 2 shown]
	v_add_co_ci_u32_e32 v27, vcc_lo, s3, v79, vcc_lo
	global_store_dwordx4 v[78:79], v[6:9], off
	global_store_dwordx4 v[26:27], v[68:71], off
	v_mul_f64 v[2:3], v[10:11], s[0:1]
	v_fma_f64 v[8:9], v[16:17], v[44:45], v[24:25]
	v_fma_f64 v[10:11], v[16:17], v[46:47], -v[18:19]
	v_fma_f64 v[16:17], v[12:13], v[48:49], v[52:53]
	v_fma_f64 v[14:15], v[12:13], v[50:51], -v[14:15]
	v_add_co_u32 v44, vcc_lo, v26, s2
	v_add_co_ci_u32_e32 v45, vcc_lo, s3, v27, vcc_lo
	v_fma_f64 v[18:19], v[20:21], v[56:57], v[34:35]
	v_fma_f64 v[20:21], v[20:21], v[58:59], -v[22:23]
	v_fma_f64 v[22:23], v[28:29], v[60:61], v[76:77]
	v_fma_f64 v[24:25], v[28:29], v[62:63], -v[30:31]
	;; [unrolled: 2-line block ×3, first 2 shown]
	v_mul_f64 v[6:7], v[32:33], s[0:1]
	v_fma_f64 v[30:31], v[40:41], v[72:73], v[82:83]
	v_fma_f64 v[32:33], v[40:41], v[74:75], -v[42:43]
	v_mul_f64 v[0:1], v[0:1], s[0:1]
	v_add_co_u32 v34, vcc_lo, v44, s2
	v_add_co_ci_u32_e32 v35, vcc_lo, s3, v45, vcc_lo
	v_mul_f64 v[4:5], v[54:55], s[0:1]
	v_add_co_u32 v36, vcc_lo, v34, s2
	v_add_co_ci_u32_e32 v37, vcc_lo, s3, v35, vcc_lo
	v_mul_f64 v[8:9], v[8:9], s[0:1]
	v_add_co_u32 v38, vcc_lo, v36, s2
	v_mul_f64 v[10:11], v[10:11], s[0:1]
	v_mul_f64 v[12:13], v[16:17], s[0:1]
	;; [unrolled: 1-line block ×3, first 2 shown]
	v_add_co_ci_u32_e32 v39, vcc_lo, s3, v37, vcc_lo
	v_mul_f64 v[16:17], v[18:19], s[0:1]
	v_mul_f64 v[18:19], v[20:21], s[0:1]
	;; [unrolled: 1-line block ×8, first 2 shown]
	v_add_co_u32 v32, vcc_lo, v38, s2
	v_add_co_ci_u32_e32 v33, vcc_lo, s3, v39, vcc_lo
	global_store_dwordx4 v[44:45], v[0:3], off
	v_add_co_u32 v0, vcc_lo, v32, s2
	v_add_co_ci_u32_e32 v1, vcc_lo, s3, v33, vcc_lo
	global_store_dwordx4 v[34:35], v[4:7], off
	;; [unrolled: 3-line block ×4, first 2 shown]
	global_store_dwordx4 v[32:33], v[16:19], off
	global_store_dwordx4 v[0:1], v[20:23], off
	;; [unrolled: 1-line block ×4, first 2 shown]
.LBB0_10:
	s_endpgm
	.section	.rodata,"a",@progbits
	.p2align	6, 0x0
	.amdhsa_kernel bluestein_single_back_len605_dim1_dp_op_CI_CI
		.amdhsa_group_segment_fixed_size 9680
		.amdhsa_private_segment_fixed_size 0
		.amdhsa_kernarg_size 104
		.amdhsa_user_sgpr_count 6
		.amdhsa_user_sgpr_private_segment_buffer 1
		.amdhsa_user_sgpr_dispatch_ptr 0
		.amdhsa_user_sgpr_queue_ptr 0
		.amdhsa_user_sgpr_kernarg_segment_ptr 1
		.amdhsa_user_sgpr_dispatch_id 0
		.amdhsa_user_sgpr_flat_scratch_init 0
		.amdhsa_user_sgpr_private_segment_size 0
		.amdhsa_wavefront_size32 1
		.amdhsa_uses_dynamic_stack 0
		.amdhsa_system_sgpr_private_segment_wavefront_offset 0
		.amdhsa_system_sgpr_workgroup_id_x 1
		.amdhsa_system_sgpr_workgroup_id_y 0
		.amdhsa_system_sgpr_workgroup_id_z 0
		.amdhsa_system_sgpr_workgroup_info 0
		.amdhsa_system_vgpr_workitem_id 0
		.amdhsa_next_free_vgpr 243
		.amdhsa_next_free_sgpr 38
		.amdhsa_reserve_vcc 1
		.amdhsa_reserve_flat_scratch 0
		.amdhsa_float_round_mode_32 0
		.amdhsa_float_round_mode_16_64 0
		.amdhsa_float_denorm_mode_32 3
		.amdhsa_float_denorm_mode_16_64 3
		.amdhsa_dx10_clamp 1
		.amdhsa_ieee_mode 1
		.amdhsa_fp16_overflow 0
		.amdhsa_workgroup_processor_mode 1
		.amdhsa_memory_ordered 1
		.amdhsa_forward_progress 0
		.amdhsa_shared_vgpr_count 0
		.amdhsa_exception_fp_ieee_invalid_op 0
		.amdhsa_exception_fp_denorm_src 0
		.amdhsa_exception_fp_ieee_div_zero 0
		.amdhsa_exception_fp_ieee_overflow 0
		.amdhsa_exception_fp_ieee_underflow 0
		.amdhsa_exception_fp_ieee_inexact 0
		.amdhsa_exception_int_div_zero 0
	.end_amdhsa_kernel
	.text
.Lfunc_end0:
	.size	bluestein_single_back_len605_dim1_dp_op_CI_CI, .Lfunc_end0-bluestein_single_back_len605_dim1_dp_op_CI_CI
                                        ; -- End function
	.section	.AMDGPU.csdata,"",@progbits
; Kernel info:
; codeLenInByte = 19220
; NumSgprs: 40
; NumVgprs: 243
; ScratchSize: 0
; MemoryBound: 0
; FloatMode: 240
; IeeeMode: 1
; LDSByteSize: 9680 bytes/workgroup (compile time only)
; SGPRBlocks: 4
; VGPRBlocks: 30
; NumSGPRsForWavesPerEU: 40
; NumVGPRsForWavesPerEU: 243
; Occupancy: 4
; WaveLimiterHint : 1
; COMPUTE_PGM_RSRC2:SCRATCH_EN: 0
; COMPUTE_PGM_RSRC2:USER_SGPR: 6
; COMPUTE_PGM_RSRC2:TRAP_HANDLER: 0
; COMPUTE_PGM_RSRC2:TGID_X_EN: 1
; COMPUTE_PGM_RSRC2:TGID_Y_EN: 0
; COMPUTE_PGM_RSRC2:TGID_Z_EN: 0
; COMPUTE_PGM_RSRC2:TIDIG_COMP_CNT: 0
	.text
	.p2alignl 6, 3214868480
	.fill 48, 4, 3214868480
	.type	__hip_cuid_fdd3e7f8509fe826,@object ; @__hip_cuid_fdd3e7f8509fe826
	.section	.bss,"aw",@nobits
	.globl	__hip_cuid_fdd3e7f8509fe826
__hip_cuid_fdd3e7f8509fe826:
	.byte	0                               ; 0x0
	.size	__hip_cuid_fdd3e7f8509fe826, 1

	.ident	"AMD clang version 19.0.0git (https://github.com/RadeonOpenCompute/llvm-project roc-6.4.0 25133 c7fe45cf4b819c5991fe208aaa96edf142730f1d)"
	.section	".note.GNU-stack","",@progbits
	.addrsig
	.addrsig_sym __hip_cuid_fdd3e7f8509fe826
	.amdgpu_metadata
---
amdhsa.kernels:
  - .args:
      - .actual_access:  read_only
        .address_space:  global
        .offset:         0
        .size:           8
        .value_kind:     global_buffer
      - .actual_access:  read_only
        .address_space:  global
        .offset:         8
        .size:           8
        .value_kind:     global_buffer
      - .actual_access:  read_only
        .address_space:  global
        .offset:         16
        .size:           8
        .value_kind:     global_buffer
      - .actual_access:  read_only
        .address_space:  global
        .offset:         24
        .size:           8
        .value_kind:     global_buffer
      - .actual_access:  read_only
        .address_space:  global
        .offset:         32
        .size:           8
        .value_kind:     global_buffer
      - .offset:         40
        .size:           8
        .value_kind:     by_value
      - .address_space:  global
        .offset:         48
        .size:           8
        .value_kind:     global_buffer
      - .address_space:  global
        .offset:         56
        .size:           8
        .value_kind:     global_buffer
      - .address_space:  global
        .offset:         64
        .size:           8
        .value_kind:     global_buffer
      - .address_space:  global
        .offset:         72
        .size:           8
        .value_kind:     global_buffer
      - .offset:         80
        .size:           4
        .value_kind:     by_value
      - .address_space:  global
        .offset:         88
        .size:           8
        .value_kind:     global_buffer
      - .address_space:  global
        .offset:         96
        .size:           8
        .value_kind:     global_buffer
    .group_segment_fixed_size: 9680
    .kernarg_segment_align: 8
    .kernarg_segment_size: 104
    .language:       OpenCL C
    .language_version:
      - 2
      - 0
    .max_flat_workgroup_size: 55
    .name:           bluestein_single_back_len605_dim1_dp_op_CI_CI
    .private_segment_fixed_size: 0
    .sgpr_count:     40
    .sgpr_spill_count: 0
    .symbol:         bluestein_single_back_len605_dim1_dp_op_CI_CI.kd
    .uniform_work_group_size: 1
    .uses_dynamic_stack: false
    .vgpr_count:     243
    .vgpr_spill_count: 0
    .wavefront_size: 32
    .workgroup_processor_mode: 1
amdhsa.target:   amdgcn-amd-amdhsa--gfx1030
amdhsa.version:
  - 1
  - 2
...

	.end_amdgpu_metadata
